;; amdgpu-corpus repo=ROCm/rocFFT kind=compiled arch=gfx906 opt=O3
	.text
	.amdgcn_target "amdgcn-amd-amdhsa--gfx906"
	.amdhsa_code_object_version 6
	.protected	fft_rtc_back_len272_factors_16_17_wgs_119_tpt_17_halfLds_dp_op_CI_CI_unitstride_sbrr_R2C_dirReg ; -- Begin function fft_rtc_back_len272_factors_16_17_wgs_119_tpt_17_halfLds_dp_op_CI_CI_unitstride_sbrr_R2C_dirReg
	.globl	fft_rtc_back_len272_factors_16_17_wgs_119_tpt_17_halfLds_dp_op_CI_CI_unitstride_sbrr_R2C_dirReg
	.p2align	8
	.type	fft_rtc_back_len272_factors_16_17_wgs_119_tpt_17_halfLds_dp_op_CI_CI_unitstride_sbrr_R2C_dirReg,@function
fft_rtc_back_len272_factors_16_17_wgs_119_tpt_17_halfLds_dp_op_CI_CI_unitstride_sbrr_R2C_dirReg: ; @fft_rtc_back_len272_factors_16_17_wgs_119_tpt_17_halfLds_dp_op_CI_CI_unitstride_sbrr_R2C_dirReg
; %bb.0:
	s_load_dwordx4 s[8:11], s[4:5], 0x58
	s_load_dwordx4 s[12:15], s[4:5], 0x0
	;; [unrolled: 1-line block ×3, first 2 shown]
	v_mul_u32_u24_e32 v1, 0xf10, v0
	v_lshrrev_b32_e32 v1, 16, v1
	v_mad_u64_u32 v[3:4], s[0:1], s6, 7, v[1:2]
	v_mov_b32_e32 v5, 0
	v_mov_b32_e32 v1, 0
	;; [unrolled: 1-line block ×3, first 2 shown]
	s_waitcnt lgkmcnt(0)
	v_cmp_lt_u64_e64 s[0:1], s[14:15], 2
	v_mov_b32_e32 v2, 0
	v_mov_b32_e32 v77, v2
	;; [unrolled: 1-line block ×3, first 2 shown]
	s_and_b64 vcc, exec, s[0:1]
	v_mov_b32_e32 v76, v1
	v_mov_b32_e32 v80, v3
	s_cbranch_vccnz .LBB0_8
; %bb.1:
	s_load_dwordx2 s[0:1], s[4:5], 0x10
	s_add_u32 s2, s18, 8
	s_addc_u32 s3, s19, 0
	s_add_u32 s6, s16, 8
	v_mov_b32_e32 v1, 0
	s_addc_u32 s7, s17, 0
	v_mov_b32_e32 v2, 0
	s_waitcnt lgkmcnt(0)
	s_add_u32 s20, s0, 8
	v_mov_b32_e32 v77, v2
	v_mov_b32_e32 v8, v4
	s_addc_u32 s21, s1, 0
	s_mov_b64 s[22:23], 1
	v_mov_b32_e32 v76, v1
	v_mov_b32_e32 v7, v3
.LBB0_2:                                ; =>This Inner Loop Header: Depth=1
	s_load_dwordx2 s[24:25], s[20:21], 0x0
                                        ; implicit-def: $vgpr80_vgpr81
	s_waitcnt lgkmcnt(0)
	v_or_b32_e32 v6, s25, v8
	v_cmp_ne_u64_e32 vcc, 0, v[5:6]
	s_and_saveexec_b64 s[0:1], vcc
	s_xor_b64 s[26:27], exec, s[0:1]
	s_cbranch_execz .LBB0_4
; %bb.3:                                ;   in Loop: Header=BB0_2 Depth=1
	v_cvt_f32_u32_e32 v4, s24
	v_cvt_f32_u32_e32 v6, s25
	s_sub_u32 s0, 0, s24
	s_subb_u32 s1, 0, s25
	v_mac_f32_e32 v4, 0x4f800000, v6
	v_rcp_f32_e32 v4, v4
	v_mul_f32_e32 v4, 0x5f7ffffc, v4
	v_mul_f32_e32 v6, 0x2f800000, v4
	v_trunc_f32_e32 v6, v6
	v_mac_f32_e32 v4, 0xcf800000, v6
	v_cvt_u32_f32_e32 v6, v6
	v_cvt_u32_f32_e32 v4, v4
	v_mul_lo_u32 v9, s0, v6
	v_mul_hi_u32 v10, s0, v4
	v_mul_lo_u32 v12, s1, v4
	v_mul_lo_u32 v11, s0, v4
	v_add_u32_e32 v9, v10, v9
	v_add_u32_e32 v9, v9, v12
	v_mul_hi_u32 v10, v4, v11
	v_mul_lo_u32 v12, v4, v9
	v_mul_hi_u32 v14, v4, v9
	v_mul_hi_u32 v13, v6, v11
	v_mul_lo_u32 v11, v6, v11
	v_mul_hi_u32 v15, v6, v9
	v_add_co_u32_e32 v10, vcc, v10, v12
	v_addc_co_u32_e32 v12, vcc, 0, v14, vcc
	v_mul_lo_u32 v9, v6, v9
	v_add_co_u32_e32 v10, vcc, v10, v11
	v_addc_co_u32_e32 v10, vcc, v12, v13, vcc
	v_addc_co_u32_e32 v11, vcc, 0, v15, vcc
	v_add_co_u32_e32 v9, vcc, v10, v9
	v_addc_co_u32_e32 v10, vcc, 0, v11, vcc
	v_add_co_u32_e32 v4, vcc, v4, v9
	v_addc_co_u32_e32 v6, vcc, v6, v10, vcc
	v_mul_lo_u32 v9, s0, v6
	v_mul_hi_u32 v10, s0, v4
	v_mul_lo_u32 v11, s1, v4
	v_mul_lo_u32 v12, s0, v4
	v_add_u32_e32 v9, v10, v9
	v_add_u32_e32 v9, v9, v11
	v_mul_lo_u32 v13, v4, v9
	v_mul_hi_u32 v14, v4, v12
	v_mul_hi_u32 v15, v4, v9
	;; [unrolled: 1-line block ×3, first 2 shown]
	v_mul_lo_u32 v12, v6, v12
	v_mul_hi_u32 v10, v6, v9
	v_add_co_u32_e32 v13, vcc, v14, v13
	v_addc_co_u32_e32 v14, vcc, 0, v15, vcc
	v_mul_lo_u32 v9, v6, v9
	v_add_co_u32_e32 v12, vcc, v13, v12
	v_addc_co_u32_e32 v11, vcc, v14, v11, vcc
	v_addc_co_u32_e32 v10, vcc, 0, v10, vcc
	v_add_co_u32_e32 v9, vcc, v11, v9
	v_addc_co_u32_e32 v10, vcc, 0, v10, vcc
	v_add_co_u32_e32 v4, vcc, v4, v9
	v_addc_co_u32_e32 v6, vcc, v6, v10, vcc
	v_mad_u64_u32 v[9:10], s[0:1], v7, v6, 0
	v_mul_hi_u32 v11, v7, v4
	v_add_co_u32_e32 v13, vcc, v11, v9
	v_addc_co_u32_e32 v14, vcc, 0, v10, vcc
	v_mad_u64_u32 v[9:10], s[0:1], v8, v4, 0
	v_mad_u64_u32 v[11:12], s[0:1], v8, v6, 0
	v_add_co_u32_e32 v4, vcc, v13, v9
	v_addc_co_u32_e32 v4, vcc, v14, v10, vcc
	v_addc_co_u32_e32 v6, vcc, 0, v12, vcc
	v_add_co_u32_e32 v4, vcc, v4, v11
	v_addc_co_u32_e32 v6, vcc, 0, v6, vcc
	v_mul_lo_u32 v11, s25, v4
	v_mul_lo_u32 v12, s24, v6
	v_mad_u64_u32 v[9:10], s[0:1], s24, v4, 0
	v_add3_u32 v10, v10, v12, v11
	v_sub_u32_e32 v11, v8, v10
	v_mov_b32_e32 v12, s25
	v_sub_co_u32_e32 v9, vcc, v7, v9
	v_subb_co_u32_e64 v11, s[0:1], v11, v12, vcc
	v_subrev_co_u32_e64 v12, s[0:1], s24, v9
	v_subbrev_co_u32_e64 v11, s[0:1], 0, v11, s[0:1]
	v_cmp_le_u32_e64 s[0:1], s25, v11
	v_cndmask_b32_e64 v13, 0, -1, s[0:1]
	v_cmp_le_u32_e64 s[0:1], s24, v12
	v_cndmask_b32_e64 v12, 0, -1, s[0:1]
	v_cmp_eq_u32_e64 s[0:1], s25, v11
	v_cndmask_b32_e64 v11, v13, v12, s[0:1]
	v_add_co_u32_e64 v12, s[0:1], 2, v4
	v_addc_co_u32_e64 v13, s[0:1], 0, v6, s[0:1]
	v_add_co_u32_e64 v14, s[0:1], 1, v4
	v_addc_co_u32_e64 v15, s[0:1], 0, v6, s[0:1]
	v_subb_co_u32_e32 v10, vcc, v8, v10, vcc
	v_cmp_ne_u32_e64 s[0:1], 0, v11
	v_cmp_le_u32_e32 vcc, s25, v10
	v_cndmask_b32_e64 v11, v15, v13, s[0:1]
	v_cndmask_b32_e64 v13, 0, -1, vcc
	v_cmp_le_u32_e32 vcc, s24, v9
	v_cndmask_b32_e64 v9, 0, -1, vcc
	v_cmp_eq_u32_e32 vcc, s25, v10
	v_cndmask_b32_e32 v9, v13, v9, vcc
	v_cmp_ne_u32_e32 vcc, 0, v9
	v_cndmask_b32_e32 v81, v6, v11, vcc
	v_cndmask_b32_e64 v6, v14, v12, s[0:1]
	v_cndmask_b32_e32 v80, v4, v6, vcc
.LBB0_4:                                ;   in Loop: Header=BB0_2 Depth=1
	s_andn2_saveexec_b64 s[0:1], s[26:27]
	s_cbranch_execz .LBB0_6
; %bb.5:                                ;   in Loop: Header=BB0_2 Depth=1
	v_cvt_f32_u32_e32 v4, s24
	s_sub_i32 s26, 0, s24
	v_mov_b32_e32 v81, v5
	v_rcp_iflag_f32_e32 v4, v4
	v_mul_f32_e32 v4, 0x4f7ffffe, v4
	v_cvt_u32_f32_e32 v4, v4
	v_mul_lo_u32 v6, s26, v4
	v_mul_hi_u32 v6, v4, v6
	v_add_u32_e32 v4, v4, v6
	v_mul_hi_u32 v4, v7, v4
	v_mul_lo_u32 v6, v4, s24
	v_add_u32_e32 v9, 1, v4
	v_sub_u32_e32 v6, v7, v6
	v_subrev_u32_e32 v10, s24, v6
	v_cmp_le_u32_e32 vcc, s24, v6
	v_cndmask_b32_e32 v6, v6, v10, vcc
	v_cndmask_b32_e32 v4, v4, v9, vcc
	v_add_u32_e32 v9, 1, v4
	v_cmp_le_u32_e32 vcc, s24, v6
	v_cndmask_b32_e32 v80, v4, v9, vcc
.LBB0_6:                                ;   in Loop: Header=BB0_2 Depth=1
	s_or_b64 exec, exec, s[0:1]
	v_mul_lo_u32 v4, v81, s24
	v_mul_lo_u32 v6, v80, s25
	v_mad_u64_u32 v[9:10], s[0:1], v80, s24, 0
	s_load_dwordx2 s[0:1], s[6:7], 0x0
	s_load_dwordx2 s[24:25], s[2:3], 0x0
	v_add3_u32 v4, v10, v6, v4
	v_sub_co_u32_e32 v6, vcc, v7, v9
	v_subb_co_u32_e32 v4, vcc, v8, v4, vcc
	s_waitcnt lgkmcnt(0)
	v_mul_lo_u32 v7, s0, v4
	v_mul_lo_u32 v8, s1, v6
	v_mad_u64_u32 v[1:2], s[0:1], s0, v6, v[1:2]
	s_add_u32 s22, s22, 1
	s_addc_u32 s23, s23, 0
	s_add_u32 s2, s2, 8
	v_mul_lo_u32 v4, s24, v4
	v_mul_lo_u32 v9, s25, v6
	v_mad_u64_u32 v[76:77], s[0:1], s24, v6, v[76:77]
	v_add3_u32 v2, v8, v2, v7
	s_addc_u32 s3, s3, 0
	v_mov_b32_e32 v6, s14
	s_add_u32 s6, s6, 8
	v_mov_b32_e32 v7, s15
	s_addc_u32 s7, s7, 0
	v_cmp_ge_u64_e32 vcc, s[22:23], v[6:7]
	s_add_u32 s20, s20, 8
	v_add3_u32 v77, v9, v77, v4
	s_addc_u32 s21, s21, 0
	s_cbranch_vccnz .LBB0_8
; %bb.7:                                ;   in Loop: Header=BB0_2 Depth=1
	v_mov_b32_e32 v7, v80
	v_mov_b32_e32 v8, v81
	s_branch .LBB0_2
.LBB0_8:
	s_mov_b32 s0, 0x24924925
	v_mul_hi_u32 v4, v3, s0
	s_load_dwordx2 s[0:1], s[4:5], 0x28
	s_lshl_b64 s[6:7], s[14:15], 3
	s_add_u32 s2, s18, s6
	v_sub_u32_e32 v5, v3, v4
	v_lshrrev_b32_e32 v5, 1, v5
	v_add_u32_e32 v4, v5, v4
	v_lshrrev_b32_e32 v4, 2, v4
	v_mul_lo_u32 v4, v4, 7
	s_waitcnt lgkmcnt(0)
	v_cmp_gt_u64_e32 vcc, s[0:1], v[80:81]
	v_cmp_le_u64_e64 s[0:1], s[0:1], v[80:81]
	s_addc_u32 s3, s19, s7
	v_sub_u32_e32 v3, v3, v4
                                        ; implicit-def: $vgpr78
	s_and_saveexec_b64 s[4:5], s[0:1]
	s_xor_b64 s[0:1], exec, s[4:5]
; %bb.9:
	s_mov_b32 s4, 0xf0f0f10
	v_mul_hi_u32 v1, v0, s4
	v_mul_u32_u24_e32 v1, 17, v1
	v_sub_u32_e32 v78, v0, v1
                                        ; implicit-def: $vgpr0
                                        ; implicit-def: $vgpr1_vgpr2
; %bb.10:
	s_or_saveexec_b64 s[4:5], s[0:1]
	v_mul_u32_u24_e32 v3, 0x111, v3
	v_lshlrev_b32_e32 v64, 4, v3
	s_xor_b64 exec, exec, s[4:5]
	s_cbranch_execz .LBB0_12
; %bb.11:
	s_add_u32 s0, s16, s6
	s_addc_u32 s1, s17, s7
	s_load_dwordx2 s[0:1], s[0:1], 0x0
	s_mov_b32 s6, 0xf0f0f10
	v_mul_hi_u32 v5, v0, s6
	s_waitcnt lgkmcnt(0)
	v_mul_lo_u32 v6, s1, v80
	v_mul_lo_u32 v7, s0, v81
	v_mad_u64_u32 v[3:4], s[0:1], s0, v80, 0
	v_mul_u32_u24_e32 v5, 17, v5
	v_sub_u32_e32 v78, v0, v5
	v_add3_u32 v4, v4, v7, v6
	v_lshlrev_b64 v[3:4], 4, v[3:4]
	v_mov_b32_e32 v0, s9
	v_add_co_u32_e64 v3, s[0:1], s8, v3
	v_addc_co_u32_e64 v4, s[0:1], v0, v4, s[0:1]
	v_lshlrev_b64 v[0:1], 4, v[1:2]
	v_lshlrev_b32_e32 v65, 4, v78
	v_add_co_u32_e64 v0, s[0:1], v3, v0
	v_addc_co_u32_e64 v1, s[0:1], v4, v1, s[0:1]
	v_add_co_u32_e64 v60, s[0:1], v0, v65
	v_addc_co_u32_e64 v61, s[0:1], 0, v1, s[0:1]
	global_load_dwordx4 v[0:3], v[60:61], off
	global_load_dwordx4 v[4:7], v[60:61], off offset:272
	global_load_dwordx4 v[8:11], v[60:61], off offset:544
	;; [unrolled: 1-line block ×14, first 2 shown]
	s_nop 0
	global_load_dwordx4 v[60:63], v[60:61], off offset:4080
	v_add3_u32 v65, 0, v64, v65
	s_waitcnt vmcnt(15)
	ds_write_b128 v65, v[0:3]
	s_waitcnt vmcnt(14)
	ds_write_b128 v65, v[4:7] offset:272
	s_waitcnt vmcnt(13)
	ds_write_b128 v65, v[8:11] offset:544
	;; [unrolled: 2-line block ×15, first 2 shown]
.LBB0_12:
	s_or_b64 exec, exec, s[4:5]
	v_add_u32_e32 v184, 0, v64
	v_lshlrev_b32_e32 v79, 4, v78
	v_add_u32_e32 v185, v184, v79
	s_load_dwordx2 s[2:3], s[2:3], 0x0
	s_waitcnt lgkmcnt(0)
	s_barrier
	v_add3_u32 v186, 0, v79, v64
	ds_read_b128 v[0:3], v185
	ds_read_b128 v[4:7], v186 offset:272
	ds_read_b128 v[8:11], v186 offset:544
	;; [unrolled: 1-line block ×15, first 2 shown]
	s_waitcnt lgkmcnt(7)
	v_add_f64 v[32:33], v[0:1], -v[32:33]
	v_add_f64 v[34:35], v[2:3], -v[34:35]
	s_waitcnt lgkmcnt(3)
	v_add_f64 v[48:49], v[16:17], -v[48:49]
	v_add_f64 v[50:51], v[18:19], -v[50:51]
	;; [unrolled: 1-line block ×4, first 2 shown]
	s_waitcnt lgkmcnt(1)
	v_add_f64 v[56:57], v[24:25], -v[56:57]
	v_add_f64 v[58:59], v[26:27], -v[58:59]
	v_fma_f64 v[0:1], v[0:1], 2.0, -v[32:33]
	v_fma_f64 v[2:3], v[2:3], 2.0, -v[34:35]
	;; [unrolled: 1-line block ×5, first 2 shown]
	v_add_f64 v[50:51], v[32:33], v[50:51]
	v_fma_f64 v[24:25], v[24:25], 2.0, -v[56:57]
	v_fma_f64 v[26:27], v[26:27], 2.0, -v[58:59]
	v_add_f64 v[48:49], v[34:35], -v[48:49]
	v_add_f64 v[58:59], v[40:41], v[58:59]
	v_add_f64 v[56:57], v[42:43], -v[56:57]
	v_fma_f64 v[10:11], v[10:11], 2.0, -v[42:43]
	v_add_f64 v[36:37], v[4:5], -v[36:37]
	v_add_f64 v[52:53], v[20:21], -v[52:53]
	;; [unrolled: 1-line block ×4, first 2 shown]
	s_waitcnt lgkmcnt(0)
	v_add_f64 v[60:61], v[28:29], -v[60:61]
	v_add_f64 v[62:63], v[30:31], -v[62:63]
	;; [unrolled: 1-line block ×4, first 2 shown]
	v_fma_f64 v[32:33], v[32:33], 2.0, -v[50:51]
	v_fma_f64 v[34:35], v[34:35], 2.0, -v[48:49]
	;; [unrolled: 1-line block ×4, first 2 shown]
	s_mov_b32 s0, 0x667f3bcd
	s_mov_b32 s1, 0xbfe6a09e
	v_add_f64 v[38:39], v[6:7], -v[38:39]
	v_add_f64 v[46:47], v[14:15], -v[46:47]
	v_fma_f64 v[4:5], v[4:5], 2.0, -v[36:37]
	v_fma_f64 v[20:21], v[20:21], 2.0, -v[52:53]
	;; [unrolled: 1-line block ×6, first 2 shown]
	v_add_f64 v[18:19], v[2:3], -v[18:19]
	v_add_f64 v[26:27], v[10:11], -v[26:27]
	v_fma_f64 v[0:1], v[0:1], 2.0, -v[16:17]
	v_fma_f64 v[8:9], v[8:9], 2.0, -v[24:25]
	v_add_f64 v[54:55], v[36:37], v[54:55]
	v_add_f64 v[62:63], v[44:45], v[62:63]
	v_fma_f64 v[65:66], v[40:41], s[0:1], v[32:33]
	v_fma_f64 v[67:68], v[42:43], s[0:1], v[34:35]
	s_mov_b32 s5, 0x3fe6a09e
	s_mov_b32 s4, s0
	v_fma_f64 v[6:7], v[6:7], 2.0, -v[38:39]
	v_fma_f64 v[14:15], v[14:15], 2.0, -v[46:47]
	;; [unrolled: 1-line block ×4, first 2 shown]
	v_add_f64 v[20:21], v[4:5], -v[20:21]
	v_add_f64 v[52:53], v[38:39], -v[52:53]
	v_add_f64 v[28:29], v[12:13], -v[28:29]
	v_add_f64 v[60:61], v[46:47], -v[60:61]
	v_fma_f64 v[36:37], v[36:37], 2.0, -v[54:55]
	v_fma_f64 v[44:45], v[44:45], 2.0, -v[62:63]
	v_add_f64 v[69:70], v[0:1], -v[8:9]
	v_fma_f64 v[8:9], v[58:59], s[4:5], v[50:51]
	v_fma_f64 v[42:43], v[42:43], s[4:5], v[65:66]
	;; [unrolled: 1-line block ×3, first 2 shown]
	v_add_f64 v[67:68], v[16:17], v[26:27]
	v_add_f64 v[22:23], v[6:7], -v[22:23]
	v_add_f64 v[30:31], v[14:15], -v[30:31]
	v_fma_f64 v[4:5], v[4:5], 2.0, -v[20:21]
	v_fma_f64 v[38:39], v[38:39], 2.0, -v[52:53]
	;; [unrolled: 1-line block ×4, first 2 shown]
	v_add_f64 v[71:72], v[2:3], -v[10:11]
	v_fma_f64 v[10:11], v[56:57], s[4:5], v[48:49]
	v_add_f64 v[73:74], v[18:19], -v[24:25]
	v_fma_f64 v[82:83], v[56:57], s[4:5], v[8:9]
	v_fma_f64 v[24:25], v[32:33], 2.0, -v[42:43]
	v_fma_f64 v[32:33], v[16:17], 2.0, -v[67:68]
	v_fma_f64 v[8:9], v[44:45], s[0:1], v[36:37]
	v_fma_f64 v[16:17], v[62:63], s[4:5], v[54:55]
	v_fma_f64 v[6:7], v[6:7], 2.0, -v[22:23]
	v_fma_f64 v[14:15], v[14:15], 2.0, -v[30:31]
	v_fma_f64 v[84:85], v[58:59], s[0:1], v[10:11]
	v_fma_f64 v[26:27], v[34:35], 2.0, -v[65:66]
	v_fma_f64 v[34:35], v[18:19], 2.0, -v[73:74]
	v_fma_f64 v[10:11], v[46:47], s[0:1], v[38:39]
	v_fma_f64 v[40:41], v[50:51], 2.0, -v[82:83]
	v_fma_f64 v[18:19], v[60:61], s[4:5], v[52:53]
	v_add_f64 v[50:51], v[4:5], -v[12:13]
	v_fma_f64 v[46:47], v[46:47], s[4:5], v[8:9]
	v_add_f64 v[86:87], v[20:21], v[30:31]
	v_add_f64 v[88:89], v[22:23], -v[28:29]
	v_fma_f64 v[90:91], v[60:61], s[4:5], v[16:17]
	v_fma_f64 v[0:1], v[0:1], 2.0, -v[69:70]
	v_add_f64 v[56:57], v[6:7], -v[14:15]
	v_fma_f64 v[44:45], v[44:45], s[0:1], v[10:11]
	v_fma_f64 v[60:61], v[62:63], s[0:1], v[18:19]
	v_fma_f64 v[4:5], v[4:5], 2.0, -v[50:51]
	v_fma_f64 v[12:13], v[36:37], 2.0, -v[46:47]
	;; [unrolled: 1-line block ×5, first 2 shown]
	s_mov_b32 s6, 0xcf328d46
	s_mov_b32 s8, 0xa6aea964
	s_mov_b32 s7, 0xbfed906b
	s_mov_b32 s9, 0x3fd87de2
	s_mov_b32 s15, 0xbfd87de2
	s_mov_b32 s14, s8
	v_fma_f64 v[2:3], v[2:3], 2.0, -v[71:72]
	v_fma_f64 v[48:49], v[48:49], 2.0, -v[84:85]
	;; [unrolled: 1-line block ×5, first 2 shown]
	v_add_f64 v[8:9], v[0:1], -v[4:5]
	v_fma_f64 v[4:5], v[12:13], s[6:7], v[24:25]
	v_fma_f64 v[28:29], v[18:19], s[0:1], v[32:33]
	;; [unrolled: 1-line block ×4, first 2 shown]
	s_mov_b32 s17, 0x3fed906b
	s_mov_b32 s16, s6
	v_add_f64 v[10:11], v[2:3], -v[6:7]
	v_fma_f64 v[6:7], v[14:15], s[6:7], v[26:27]
	v_fma_f64 v[38:39], v[22:23], s[14:15], v[48:49]
	;; [unrolled: 1-line block ×10, first 2 shown]
	v_fma_f64 v[12:13], v[24:25], 2.0, -v[4:5]
	v_fma_f64 v[20:21], v[32:33], 2.0, -v[16:17]
	;; [unrolled: 1-line block ×4, first 2 shown]
	v_fma_f64 v[32:33], v[46:47], s[8:9], v[42:43]
	v_fma_f64 v[34:35], v[44:45], s[8:9], v[65:66]
	;; [unrolled: 1-line block ×4, first 2 shown]
	v_fma_f64 v[14:15], v[26:27], 2.0, -v[6:7]
	v_fma_f64 v[26:27], v[48:49], 2.0, -v[30:31]
	v_add_f64 v[48:49], v[69:70], v[56:57]
	v_add_f64 v[50:51], v[71:72], -v[50:51]
	v_fma_f64 v[56:57], v[44:45], s[16:17], v[32:33]
	v_fma_f64 v[58:59], v[46:47], s[6:7], v[34:35]
	;; [unrolled: 1-line block ×6, first 2 shown]
	v_fma_f64 v[0:1], v[0:1], 2.0, -v[8:9]
	v_fma_f64 v[2:3], v[2:3], 2.0, -v[10:11]
	;; [unrolled: 1-line block ×10, first 2 shown]
	v_lshl_add_u32 v65, v78, 8, 0
	v_add_u32_e32 v66, v65, v64
	v_cmp_gt_u32_e64 s[0:1], 16, v78
	s_barrier
	ds_write_b128 v66, v[0:3]
	ds_write_b128 v66, v[12:15] offset:16
	ds_write_b128 v66, v[20:23] offset:32
	;; [unrolled: 1-line block ×15, first 2 shown]
	s_waitcnt lgkmcnt(0)
	s_barrier
	s_waitcnt lgkmcnt(0)
                                        ; implicit-def: $vgpr66_vgpr67
	s_and_saveexec_b64 s[4:5], s[0:1]
	s_cbranch_execz .LBB0_14
; %bb.13:
	v_mul_i32_i24_e32 v0, 0xffffff10, v78
	v_add3_u32 v64, v65, v0, v64
	ds_read_b128 v[0:3], v185
	ds_read_b128 v[12:15], v64 offset:256
	ds_read_b128 v[20:23], v64 offset:512
	;; [unrolled: 1-line block ×16, first 2 shown]
.LBB0_14:
	s_or_b64 exec, exec, s[4:5]
	s_waitcnt lgkmcnt(0)
	s_barrier
	s_and_saveexec_b64 s[4:5], s[0:1]
	s_cbranch_execz .LBB0_16
; %bb.15:
	v_and_b32_e32 v68, 0xf0, v79
	v_lshlrev_b32_e32 v90, 4, v68
	global_load_dwordx4 v[68:71], v90, s[12:13] offset:112
	global_load_dwordx4 v[72:75], v90, s[12:13] offset:128
	;; [unrolled: 1-line block ×12, first 2 shown]
	global_load_dwordx4 v[134:137], v90, s[12:13]
	global_load_dwordx4 v[138:141], v90, s[12:13] offset:240
	global_load_dwordx4 v[142:145], v90, s[12:13] offset:16
	;; [unrolled: 1-line block ×3, first 2 shown]
	s_mov_b32 s8, 0xacd6c6b4
	s_mov_b32 s9, 0xbfc7851a
	;; [unrolled: 1-line block ×46, first 2 shown]
	s_waitcnt vmcnt(15)
	v_mul_f64 v[90:91], v[10:11], v[70:71]
	v_mul_f64 v[70:71], v[8:9], v[70:71]
	s_waitcnt vmcnt(14)
	v_mul_f64 v[158:159], v[6:7], v[74:75]
	v_mul_f64 v[168:169], v[4:5], v[74:75]
	;; [unrolled: 3-line block ×3, first 2 shown]
	s_waitcnt vmcnt(10)
	v_mul_f64 v[128:129], v[30:31], v[104:105]
	s_waitcnt vmcnt(8)
	v_mul_f64 v[152:153], v[50:51], v[112:113]
	v_mul_f64 v[146:147], v[42:43], v[94:95]
	;; [unrolled: 1-line block ×4, first 2 shown]
	s_waitcnt vmcnt(7)
	v_mul_f64 v[156:157], v[34:35], v[116:117]
	s_waitcnt vmcnt(3)
	v_mul_f64 v[170:171], v[14:15], v[136:137]
	s_waitcnt vmcnt(2)
	v_mul_f64 v[176:177], v[66:67], v[140:141]
	v_mul_f64 v[160:161], v[32:33], v[116:117]
	v_mul_f64 v[162:163], v[58:59], v[120:121]
	;; [unrolled: 1-line block ×4, first 2 shown]
	s_waitcnt vmcnt(1)
	v_mul_f64 v[180:181], v[22:23], v[144:145]
	s_waitcnt vmcnt(0)
	v_mul_f64 v[182:183], v[62:63], v[150:151]
	v_fma_f64 v[116:117], v[44:45], v[86:87], v[126:127]
	v_fma_f64 v[126:127], v[46:47], v[86:87], -v[88:89]
	v_fma_f64 v[86:87], v[48:49], v[110:111], v[152:153]
	v_fma_f64 v[170:171], v[12:13], v[134:135], v[170:171]
	v_fma_f64 v[48:49], v[64:65], v[138:139], v[176:177]
	v_mul_f64 v[120:121], v[56:57], v[120:121]
	v_mul_f64 v[166:167], v[26:27], v[124:125]
	;; [unrolled: 1-line block ×5, first 2 shown]
	v_fma_f64 v[106:107], v[8:9], v[68:69], v[90:91]
	v_fma_f64 v[108:109], v[10:11], v[68:69], -v[70:71]
	v_fma_f64 v[90:91], v[28:29], v[102:103], v[128:129]
	v_fma_f64 v[128:129], v[40:41], v[92:93], v[146:147]
	v_fma_f64 v[140:141], v[42:43], v[92:93], -v[94:95]
	v_fma_f64 v[92:93], v[50:51], v[110:111], -v[154:155]
	v_fma_f64 v[68:69], v[56:57], v[118:119], v[162:163]
	v_fma_f64 v[172:173], v[14:15], v[134:135], -v[136:137]
	v_fma_f64 v[50:51], v[66:67], v[138:139], -v[178:179]
	v_fma_f64 v[162:163], v[20:21], v[142:143], v[180:181]
	v_fma_f64 v[56:57], v[60:61], v[148:149], v[182:183]
	v_add_f64 v[40:41], v[170:171], -v[48:49]
	v_mul_f64 v[124:125], v[24:25], v[124:125]
	v_mul_f64 v[132:133], v[52:53], v[132:133]
	v_fma_f64 v[146:147], v[32:33], v[114:115], v[156:157]
	v_fma_f64 v[70:71], v[58:59], v[118:119], -v[120:121]
	v_fma_f64 v[156:157], v[24:25], v[122:123], v[166:167]
	v_fma_f64 v[166:167], v[22:23], v[142:143], -v[144:145]
	v_fma_f64 v[58:59], v[62:63], v[148:149], -v[150:151]
	v_fma_f64 v[52:53], v[52:53], v[130:131], v[174:175]
	v_add_f64 v[178:179], v[172:173], -v[50:51]
	v_add_f64 v[176:177], v[172:173], v[50:51]
	v_add_f64 v[154:155], v[162:163], -v[56:57]
	v_mul_f64 v[8:9], v[40:41], s[8:9]
	v_mul_f64 v[74:75], v[38:39], v[84:85]
	;; [unrolled: 1-line block ×4, first 2 shown]
	v_fma_f64 v[152:153], v[34:35], v[114:115], -v[160:161]
	v_fma_f64 v[160:161], v[26:27], v[122:123], -v[124:125]
	;; [unrolled: 1-line block ×3, first 2 shown]
	v_add_f64 v[174:175], v[170:171], v[48:49]
	v_add_f64 v[132:133], v[166:167], -v[58:59]
	v_add_f64 v[94:95], v[166:167], v[58:59]
	v_add_f64 v[150:151], v[156:157], -v[52:53]
	v_mul_f64 v[10:11], v[178:179], s[8:9]
	v_mul_f64 v[12:13], v[154:155], s[14:15]
	v_fma_f64 v[14:15], v[176:177], s[0:1], v[8:9]
	v_mul_f64 v[98:99], v[16:17], v[98:99]
	v_fma_f64 v[112:113], v[36:37], v[82:83], v[74:75]
	v_fma_f64 v[100:101], v[16:17], v[96:97], v[84:85]
	v_add_f64 v[74:75], v[162:163], v[56:57]
	v_add_f64 v[122:123], v[160:161], -v[64:65]
	v_add_f64 v[88:89], v[160:161], v[64:65]
	v_add_f64 v[138:139], v[146:147], -v[68:69]
	v_mul_f64 v[16:17], v[132:133], s[14:15]
	v_mul_f64 v[20:21], v[150:151], s[18:19]
	v_fma_f64 v[22:23], v[174:175], s[0:1], -v[10:11]
	v_fma_f64 v[24:25], v[94:95], s[6:7], v[12:13]
	v_add_f64 v[14:15], v[2:3], v[14:15]
	v_mul_f64 v[104:105], v[28:29], v[104:105]
	v_add_f64 v[60:61], v[156:157], v[52:53]
	v_add_f64 v[66:67], v[152:153], v[70:71]
	v_add_f64 v[118:119], v[152:153], -v[70:71]
	v_add_f64 v[136:137], v[128:129], -v[86:87]
	v_mul_f64 v[26:27], v[122:123], s[18:19]
	v_mul_f64 v[28:29], v[138:139], s[42:43]
	v_fma_f64 v[32:33], v[74:75], s[6:7], -v[16:17]
	v_fma_f64 v[34:35], v[88:89], s[16:17], v[20:21]
	v_add_f64 v[22:23], v[0:1], v[22:23]
	v_add_f64 v[14:15], v[24:25], v[14:15]
	;; [unrolled: 1-line block ×4, first 2 shown]
	v_add_f64 v[120:121], v[140:141], -v[92:93]
	v_mul_f64 v[24:25], v[118:119], s[42:43]
	v_mul_f64 v[36:37], v[136:137], s[24:25]
	v_fma_f64 v[42:43], v[60:61], s[16:17], -v[26:27]
	v_fma_f64 v[44:45], v[66:67], s[22:23], v[28:29]
	v_add_f64 v[22:23], v[32:33], v[22:23]
	v_add_f64 v[14:15], v[34:35], v[14:15]
	v_fma_f64 v[124:125], v[30:31], v[102:103], -v[104:105]
	v_add_f64 v[142:143], v[116:117], -v[90:91]
	v_add_f64 v[62:63], v[128:129], v[86:87]
	v_mul_f64 v[30:31], v[120:121], s[24:25]
	v_fma_f64 v[32:33], v[54:55], s[22:23], -v[24:25]
	v_fma_f64 v[34:35], v[84:85], s[20:21], v[36:37]
	v_add_f64 v[22:23], v[42:43], v[22:23]
	v_add_f64 v[14:15], v[44:45], v[14:15]
	v_fma_f64 v[164:165], v[38:39], v[82:83], -v[164:165]
	v_fma_f64 v[148:149], v[18:19], v[96:97], -v[98:99]
	v_add_f64 v[98:99], v[126:127], v[124:125]
	v_mul_f64 v[18:19], v[142:143], s[28:29]
	v_add_f64 v[144:145], v[112:113], -v[100:101]
	v_add_f64 v[130:131], v[126:127], -v[124:125]
	v_fma_f64 v[38:39], v[62:63], s[20:21], -v[30:31]
	v_add_f64 v[22:23], v[32:33], v[22:23]
	v_add_f64 v[14:15], v[34:35], v[14:15]
	;; [unrolled: 1-line block ×4, first 2 shown]
	v_fma_f64 v[32:33], v[98:99], s[26:27], v[18:19]
	v_mul_f64 v[34:35], v[144:145], s[36:37]
	v_mul_f64 v[42:43], v[130:131], s[28:29]
	v_fma_f64 v[158:159], v[4:5], v[72:73], v[158:159]
	v_add_f64 v[134:135], v[164:165], -v[148:149]
	v_fma_f64 v[168:169], v[6:7], v[72:73], -v[168:169]
	v_fma_f64 v[6:7], v[176:177], s[0:1], -v[8:9]
	v_add_f64 v[22:23], v[38:39], v[22:23]
	v_add_f64 v[4:5], v[32:33], v[14:15]
	v_fma_f64 v[14:15], v[82:83], s[30:31], v[34:35]
	v_fma_f64 v[32:33], v[96:97], s[26:27], -v[42:43]
	v_add_f64 v[72:73], v[112:113], v[100:101]
	v_mul_f64 v[8:9], v[134:135], s[36:37]
	v_add_f64 v[114:115], v[106:107], -v[158:159]
	v_add_f64 v[110:111], v[108:109], -v[168:169]
	v_fma_f64 v[12:13], v[94:95], s[6:7], -v[12:13]
	v_add_f64 v[6:7], v[2:3], v[6:7]
	v_add_f64 v[4:5], v[14:15], v[4:5]
	;; [unrolled: 1-line block ×4, first 2 shown]
	v_fma_f64 v[22:23], v[72:73], s[30:31], -v[8:9]
	v_mul_f64 v[32:33], v[114:115], s[54:55]
	v_add_f64 v[102:103], v[106:107], v[158:159]
	v_mul_f64 v[38:39], v[110:111], s[54:55]
	v_add_f64 v[6:7], v[12:13], v[6:7]
	v_fma_f64 v[12:13], v[88:89], s[16:17], -v[20:21]
	v_fma_f64 v[10:11], v[174:175], s[0:1], v[10:11]
	v_mul_f64 v[20:21], v[40:41], s[18:19]
	v_add_f64 v[14:15], v[22:23], v[14:15]
	v_fma_f64 v[22:23], v[104:105], s[34:35], v[32:33]
	v_fma_f64 v[28:29], v[66:67], s[22:23], -v[28:29]
	v_fma_f64 v[44:45], v[102:103], s[34:35], -v[38:39]
	v_fma_f64 v[16:17], v[74:75], s[6:7], v[16:17]
	v_add_f64 v[12:13], v[12:13], v[6:7]
	v_add_f64 v[10:11], v[0:1], v[10:11]
	v_fma_f64 v[46:47], v[176:177], s[16:17], v[20:21]
	v_mul_f64 v[180:181], v[154:155], s[28:29]
	v_add_f64 v[6:7], v[22:23], v[4:5]
	v_fma_f64 v[30:31], v[62:63], s[20:21], v[30:31]
	v_add_f64 v[4:5], v[44:45], v[14:15]
	v_fma_f64 v[14:15], v[84:85], s[20:21], -v[36:37]
	v_add_f64 v[12:13], v[28:29], v[12:13]
	v_add_f64 v[10:11], v[16:17], v[10:11]
	v_fma_f64 v[16:17], v[60:61], s[16:17], v[26:27]
	v_add_f64 v[22:23], v[2:3], v[46:47]
	v_fma_f64 v[26:27], v[94:95], s[26:27], v[180:181]
	v_mul_f64 v[28:29], v[178:179], s[18:19]
	v_mul_f64 v[36:37], v[150:151], s[38:39]
	;; [unrolled: 1-line block ×3, first 2 shown]
	v_add_f64 v[12:13], v[14:15], v[12:13]
	v_fma_f64 v[14:15], v[98:99], s[26:27], -v[18:19]
	v_add_f64 v[10:11], v[16:17], v[10:11]
	v_fma_f64 v[16:17], v[54:55], s[22:23], v[24:25]
	v_add_f64 v[18:19], v[26:27], v[22:23]
	v_fma_f64 v[22:23], v[174:175], s[16:17], -v[28:29]
	v_mul_f64 v[24:25], v[132:133], s[28:29]
	v_fma_f64 v[26:27], v[88:89], s[34:35], v[36:37]
	v_mul_f64 v[46:47], v[136:137], s[44:45]
	v_add_f64 v[12:13], v[14:15], v[12:13]
	v_mul_f64 v[182:183], v[118:119], s[52:53]
	v_add_f64 v[10:11], v[16:17], v[10:11]
	v_fma_f64 v[34:35], v[82:83], s[30:31], -v[34:35]
	v_add_f64 v[14:15], v[0:1], v[22:23]
	v_fma_f64 v[16:17], v[74:75], s[26:27], -v[24:25]
	v_mul_f64 v[22:23], v[122:123], s[38:39]
	v_add_f64 v[18:19], v[26:27], v[18:19]
	v_fma_f64 v[26:27], v[66:67], s[20:21], v[44:45]
	v_mul_f64 v[187:188], v[120:121], s[44:45]
	v_add_f64 v[10:11], v[30:31], v[10:11]
	v_fma_f64 v[30:31], v[96:97], s[26:27], v[42:43]
	v_mul_f64 v[42:43], v[142:143], s[8:9]
	v_add_f64 v[14:15], v[16:17], v[14:15]
	v_fma_f64 v[16:17], v[60:61], s[34:35], -v[22:23]
	v_fma_f64 v[8:9], v[72:73], s[30:31], v[8:9]
	v_add_f64 v[18:19], v[26:27], v[18:19]
	v_fma_f64 v[26:27], v[84:85], s[6:7], v[46:47]
	v_add_f64 v[12:13], v[34:35], v[12:13]
	v_add_f64 v[10:11], v[30:31], v[10:11]
	v_mul_f64 v[30:31], v[144:145], s[42:43]
	v_mul_f64 v[34:35], v[130:131], s[8:9]
	v_add_f64 v[14:15], v[16:17], v[14:15]
	v_fma_f64 v[16:17], v[54:55], s[20:21], -v[182:183]
	v_fma_f64 v[20:21], v[176:177], s[16:17], -v[20:21]
	v_add_f64 v[18:19], v[26:27], v[18:19]
	v_fma_f64 v[26:27], v[98:99], s[0:1], v[42:43]
	v_add_f64 v[8:9], v[8:9], v[10:11]
	v_fma_f64 v[10:11], v[104:105], s[34:35], -v[32:33]
	v_fma_f64 v[32:33], v[102:103], s[34:35], v[38:39]
	v_mul_f64 v[38:39], v[134:135], s[42:43]
	v_add_f64 v[14:15], v[16:17], v[14:15]
	v_fma_f64 v[16:17], v[62:63], s[6:7], -v[187:188]
	v_mul_f64 v[189:190], v[114:115], s[36:37]
	v_add_f64 v[18:19], v[26:27], v[18:19]
	v_fma_f64 v[26:27], v[82:83], s[22:23], v[30:31]
	v_fma_f64 v[180:181], v[94:95], s[26:27], -v[180:181]
	v_fma_f64 v[28:29], v[174:175], s[16:17], v[28:29]
	v_add_f64 v[20:21], v[2:3], v[20:21]
	v_add_f64 v[10:11], v[10:11], v[12:13]
	;; [unrolled: 1-line block ×3, first 2 shown]
	v_fma_f64 v[16:17], v[96:97], s[0:1], -v[34:35]
	v_fma_f64 v[24:25], v[74:75], s[26:27], v[24:25]
	v_add_f64 v[12:13], v[26:27], v[18:19]
	v_fma_f64 v[18:19], v[104:105], s[30:31], v[189:190]
	v_add_f64 v[26:27], v[0:1], v[28:29]
	v_add_f64 v[20:21], v[180:181], v[20:21]
	v_fma_f64 v[28:29], v[88:89], s[34:35], -v[36:37]
	v_add_f64 v[8:9], v[32:33], v[8:9]
	v_add_f64 v[14:15], v[16:17], v[14:15]
	v_fma_f64 v[16:17], v[72:73], s[22:23], -v[38:39]
	v_mul_f64 v[32:33], v[110:111], s[36:37]
	v_fma_f64 v[22:23], v[60:61], s[34:35], v[22:23]
	v_mul_f64 v[36:37], v[154:155], s[40:41]
	v_mul_f64 v[180:181], v[132:133], s[40:41]
	v_add_f64 v[20:21], v[28:29], v[20:21]
	v_fma_f64 v[42:43], v[98:99], s[0:1], -v[42:43]
	v_fma_f64 v[34:35], v[96:97], s[0:1], v[34:35]
	v_add_f64 v[16:17], v[16:17], v[14:15]
	v_add_f64 v[14:15], v[18:19], v[12:13]
	v_mul_f64 v[18:19], v[40:41], s[24:25]
	v_add_f64 v[12:13], v[24:25], v[26:27]
	v_fma_f64 v[24:25], v[66:67], s[20:21], -v[44:45]
	v_fma_f64 v[26:27], v[102:103], s[30:31], -v[32:33]
	v_fma_f64 v[44:45], v[54:55], s[20:21], v[182:183]
	v_mul_f64 v[182:183], v[138:139], s[18:19]
	v_fma_f64 v[30:31], v[82:83], s[22:23], -v[30:31]
	v_fma_f64 v[38:39], v[72:73], s[22:23], v[38:39]
	v_fma_f64 v[28:29], v[176:177], s[20:21], v[18:19]
	v_add_f64 v[22:23], v[22:23], v[12:13]
	v_add_f64 v[20:21], v[24:25], v[20:21]
	v_fma_f64 v[24:25], v[84:85], s[6:7], -v[46:47]
	v_mul_f64 v[46:47], v[178:179], s[24:25]
	v_add_f64 v[12:13], v[26:27], v[16:17]
	v_fma_f64 v[26:27], v[94:95], s[30:31], v[36:37]
	v_mul_f64 v[191:192], v[142:143], s[46:47]
	v_add_f64 v[16:17], v[2:3], v[28:29]
	v_mul_f64 v[28:29], v[150:151], s[44:45]
	v_add_f64 v[22:23], v[44:45], v[22:23]
	v_fma_f64 v[44:45], v[62:63], s[6:7], v[187:188]
	v_add_f64 v[20:21], v[24:25], v[20:21]
	v_fma_f64 v[24:25], v[174:175], s[20:21], -v[46:47]
	v_mul_f64 v[187:188], v[122:123], s[44:45]
	v_mul_f64 v[193:194], v[120:121], s[54:55]
	v_add_f64 v[16:17], v[26:27], v[16:17]
	v_fma_f64 v[26:27], v[88:89], s[6:7], v[28:29]
	v_fma_f64 v[18:19], v[176:177], s[20:21], -v[18:19]
	v_add_f64 v[22:23], v[44:45], v[22:23]
	v_fma_f64 v[44:45], v[74:75], s[30:31], -v[180:181]
	v_add_f64 v[24:25], v[0:1], v[24:25]
	v_add_f64 v[20:21], v[42:43], v[20:21]
	v_mul_f64 v[42:43], v[136:137], s[54:55]
	v_fma_f64 v[36:37], v[94:95], s[30:31], -v[36:37]
	v_add_f64 v[16:17], v[26:27], v[16:17]
	v_fma_f64 v[26:27], v[66:67], s[16:17], v[182:183]
	v_add_f64 v[22:23], v[34:35], v[22:23]
	v_fma_f64 v[34:35], v[60:61], s[6:7], -v[187:188]
	v_add_f64 v[24:25], v[44:45], v[24:25]
	v_mul_f64 v[44:45], v[118:119], s[18:19]
	v_add_f64 v[20:21], v[30:31], v[20:21]
	v_add_f64 v[18:19], v[2:3], v[18:19]
	v_fma_f64 v[46:47], v[174:175], s[20:21], v[46:47]
	v_add_f64 v[16:17], v[26:27], v[16:17]
	v_fma_f64 v[26:27], v[84:85], s[34:35], v[42:43]
	v_add_f64 v[30:31], v[38:39], v[22:23]
	v_add_f64 v[24:25], v[34:35], v[24:25]
	v_fma_f64 v[34:35], v[54:55], s[16:17], -v[44:45]
	v_fma_f64 v[22:23], v[98:99], s[22:23], v[191:192]
	v_mul_f64 v[38:39], v[130:131], s[46:47]
	v_mul_f64 v[195:196], v[134:135], s[8:9]
	;; [unrolled: 1-line block ×3, first 2 shown]
	v_add_f64 v[16:17], v[26:27], v[16:17]
	v_mul_f64 v[26:27], v[144:145], s[8:9]
	v_add_f64 v[18:19], v[36:37], v[18:19]
	v_add_f64 v[24:25], v[34:35], v[24:25]
	v_fma_f64 v[34:35], v[62:63], s[34:35], -v[193:194]
	v_fma_f64 v[28:29], v[88:89], s[6:7], -v[28:29]
	v_fma_f64 v[36:37], v[74:75], s[30:31], v[180:181]
	v_add_f64 v[46:47], v[0:1], v[46:47]
	v_add_f64 v[16:17], v[22:23], v[16:17]
	v_fma_f64 v[22:23], v[82:83], s[0:1], v[26:27]
	v_fma_f64 v[189:190], v[104:105], s[30:31], -v[189:190]
	v_fma_f64 v[32:33], v[102:103], s[30:31], v[32:33]
	v_add_f64 v[24:25], v[34:35], v[24:25]
	v_fma_f64 v[34:35], v[96:97], s[22:23], -v[38:39]
	v_fma_f64 v[180:181], v[104:105], s[26:27], v[197:198]
	v_add_f64 v[28:29], v[28:29], v[18:19]
	v_fma_f64 v[182:183], v[66:67], s[16:17], -v[182:183]
	v_add_f64 v[16:17], v[22:23], v[16:17]
	v_add_f64 v[36:37], v[36:37], v[46:47]
	v_fma_f64 v[46:47], v[60:61], s[6:7], v[187:188]
	v_add_f64 v[22:23], v[189:190], v[20:21]
	v_add_f64 v[24:25], v[34:35], v[24:25]
	v_fma_f64 v[34:35], v[72:73], s[0:1], -v[195:196]
	v_add_f64 v[20:21], v[32:33], v[30:31]
	v_mul_f64 v[32:33], v[40:41], s[36:37]
	v_add_f64 v[18:19], v[180:181], v[16:17]
	v_add_f64 v[16:17], v[182:183], v[28:29]
	;; [unrolled: 1-line block ×3, first 2 shown]
	v_fma_f64 v[36:37], v[84:85], s[34:35], -v[42:43]
	v_mul_f64 v[42:43], v[178:179], s[36:37]
	v_add_f64 v[24:25], v[34:35], v[24:25]
	v_fma_f64 v[34:35], v[54:55], s[16:17], v[44:45]
	v_fma_f64 v[44:45], v[176:177], s[30:31], v[32:33]
	v_mul_f64 v[46:47], v[154:155], s[48:49]
	v_mul_f64 v[182:183], v[132:133], s[48:49]
	v_mul_f64 v[30:31], v[110:111], s[28:29]
	v_add_f64 v[16:17], v[36:37], v[16:17]
	v_fma_f64 v[36:37], v[174:175], s[30:31], -v[42:43]
	v_mul_f64 v[189:190], v[150:151], s[42:43]
	v_add_f64 v[28:29], v[34:35], v[28:29]
	v_fma_f64 v[34:35], v[62:63], s[34:35], v[193:194]
	v_add_f64 v[44:45], v[2:3], v[44:45]
	v_fma_f64 v[187:188], v[94:95], s[16:17], v[46:47]
	v_fma_f64 v[191:192], v[98:99], s[22:23], -v[191:192]
	v_mul_f64 v[193:194], v[122:123], s[42:43]
	v_add_f64 v[36:37], v[0:1], v[36:37]
	v_fma_f64 v[180:181], v[102:103], s[26:27], -v[30:31]
	v_mul_f64 v[199:200], v[138:139], s[50:51]
	v_add_f64 v[28:29], v[34:35], v[28:29]
	v_fma_f64 v[34:35], v[96:97], s[22:23], v[38:39]
	v_fma_f64 v[38:39], v[74:75], s[16:17], -v[182:183]
	v_add_f64 v[44:45], v[187:188], v[44:45]
	v_fma_f64 v[187:188], v[88:89], s[22:23], v[189:190]
	v_add_f64 v[191:192], v[191:192], v[16:17]
	v_fma_f64 v[26:27], v[82:83], s[0:1], -v[26:27]
	v_fma_f64 v[195:196], v[72:73], s[0:1], v[195:196]
	v_fma_f64 v[32:33], v[176:177], s[30:31], -v[32:33]
	v_add_f64 v[28:29], v[34:35], v[28:29]
	v_add_f64 v[16:17], v[38:39], v[36:37]
	v_fma_f64 v[36:37], v[60:61], s[22:23], -v[193:194]
	v_mul_f64 v[38:39], v[118:119], s[50:51]
	v_add_f64 v[34:35], v[187:188], v[44:45]
	v_fma_f64 v[44:45], v[66:67], s[26:27], v[199:200]
	v_mul_f64 v[187:188], v[136:137], s[8:9]
	v_fma_f64 v[197:198], v[104:105], s[26:27], -v[197:198]
	v_add_f64 v[28:29], v[195:196], v[28:29]
	v_mul_f64 v[195:196], v[130:131], s[54:55]
	v_add_f64 v[36:37], v[36:37], v[16:17]
	v_fma_f64 v[201:202], v[54:55], s[26:27], -v[38:39]
	v_add_f64 v[16:17], v[180:181], v[24:25]
	v_mul_f64 v[180:181], v[120:121], s[8:9]
	v_add_f64 v[24:25], v[26:27], v[191:192]
	v_add_f64 v[26:27], v[44:45], v[34:35]
	v_fma_f64 v[34:35], v[84:85], s[0:1], v[187:188]
	v_mul_f64 v[44:45], v[142:143], s[54:55]
	v_mul_f64 v[203:204], v[144:145], s[44:45]
	v_add_f64 v[36:37], v[201:202], v[36:37]
	v_fma_f64 v[46:47], v[94:95], s[16:17], -v[46:47]
	v_fma_f64 v[191:192], v[62:63], s[0:1], -v[180:181]
	v_add_f64 v[32:33], v[2:3], v[32:33]
	v_mul_f64 v[205:206], v[134:135], s[44:45]
	v_add_f64 v[34:35], v[34:35], v[26:27]
	v_fma_f64 v[201:202], v[98:99], s[34:35], v[44:45]
	v_fma_f64 v[30:31], v[102:103], s[26:27], v[30:31]
	v_add_f64 v[26:27], v[197:198], v[24:25]
	v_fma_f64 v[197:198], v[82:83], s[6:7], v[203:204]
	v_add_f64 v[36:37], v[191:192], v[36:37]
	v_fma_f64 v[191:192], v[96:97], s[34:35], -v[195:196]
	v_add_f64 v[32:33], v[46:47], v[32:33]
	v_fma_f64 v[46:47], v[88:89], s[22:23], -v[189:190]
	;; [unrolled: 2-line block ×3, first 2 shown]
	v_add_f64 v[24:25], v[30:31], v[28:29]
	v_fma_f64 v[28:29], v[174:175], s[30:31], v[42:43]
	v_mul_f64 v[201:202], v[178:179], s[38:39]
	v_add_f64 v[36:37], v[191:192], v[36:37]
	v_mul_f64 v[191:192], v[40:41], s[38:39]
	v_add_f64 v[32:33], v[46:47], v[32:33]
	v_add_f64 v[30:31], v[197:198], v[34:35]
	v_fma_f64 v[34:35], v[66:67], s[26:27], -v[199:200]
	v_fma_f64 v[46:47], v[74:75], s[16:17], v[182:183]
	v_add_f64 v[28:29], v[0:1], v[28:29]
	v_mul_f64 v[197:198], v[154:155], s[8:9]
	v_add_f64 v[36:37], v[189:190], v[36:37]
	v_fma_f64 v[189:190], v[176:177], s[34:35], v[191:192]
	v_fma_f64 v[209:210], v[174:175], s[34:35], -v[201:202]
	v_mul_f64 v[211:212], v[132:133], s[8:9]
	v_add_f64 v[32:33], v[34:35], v[32:33]
	v_fma_f64 v[34:35], v[84:85], s[0:1], -v[187:188]
	v_add_f64 v[28:29], v[46:47], v[28:29]
	v_fma_f64 v[46:47], v[60:61], s[22:23], v[193:194]
	v_mul_f64 v[193:194], v[150:151], s[40:41]
	v_add_f64 v[187:188], v[2:3], v[189:190]
	v_fma_f64 v[189:190], v[94:95], s[0:1], v[197:198]
	v_mul_f64 v[213:214], v[122:123], s[40:41]
	v_mul_f64 v[42:43], v[114:115], s[24:25]
	v_add_f64 v[32:33], v[34:35], v[32:33]
	v_fma_f64 v[34:35], v[54:55], s[26:27], v[38:39]
	v_add_f64 v[28:29], v[46:47], v[28:29]
	v_fma_f64 v[46:47], v[88:89], s[30:31], v[193:194]
	v_fma_f64 v[44:45], v[98:99], s[34:35], -v[44:45]
	v_add_f64 v[38:39], v[189:190], v[187:188]
	v_mul_f64 v[187:188], v[138:139], s[14:15]
	v_add_f64 v[189:190], v[0:1], v[209:210]
	v_fma_f64 v[209:210], v[74:75], s[0:1], -v[211:212]
	v_mul_f64 v[215:216], v[118:119], s[14:15]
	v_add_f64 v[28:29], v[34:35], v[28:29]
	v_fma_f64 v[34:35], v[62:63], s[0:1], v[180:181]
	v_mul_f64 v[180:181], v[136:137], s[50:51]
	v_add_f64 v[38:39], v[46:47], v[38:39]
	v_fma_f64 v[46:47], v[66:67], s[6:7], v[187:188]
	v_fma_f64 v[182:183], v[104:105], s[20:21], v[42:43]
	v_add_f64 v[189:190], v[209:210], v[189:190]
	v_fma_f64 v[209:210], v[60:61], s[30:31], -v[213:214]
	v_mul_f64 v[199:200], v[110:111], s[24:25]
	v_add_f64 v[32:33], v[44:45], v[32:33]
	v_add_f64 v[28:29], v[34:35], v[28:29]
	v_fma_f64 v[34:35], v[96:97], s[34:35], v[195:196]
	v_add_f64 v[38:39], v[46:47], v[38:39]
	v_fma_f64 v[44:45], v[84:85], s[26:27], v[180:181]
	v_mul_f64 v[46:47], v[142:143], s[18:19]
	v_add_f64 v[189:190], v[209:210], v[189:190]
	v_fma_f64 v[195:196], v[54:55], s[6:7], -v[215:216]
	v_mul_f64 v[209:210], v[120:121], s[50:51]
	v_fma_f64 v[207:208], v[102:103], s[20:21], -v[199:200]
	v_add_f64 v[34:35], v[34:35], v[28:29]
	v_fma_f64 v[205:206], v[72:73], s[6:7], v[205:206]
	v_add_f64 v[38:39], v[44:45], v[38:39]
	v_fma_f64 v[44:45], v[98:99], s[16:17], v[46:47]
	v_add_f64 v[30:31], v[182:183], v[30:31]
	v_add_f64 v[189:190], v[195:196], v[189:190]
	v_fma_f64 v[195:196], v[62:63], s[26:27], -v[209:210]
	v_mul_f64 v[182:183], v[130:131], s[18:19]
	v_fma_f64 v[203:204], v[82:83], s[6:7], -v[203:204]
	v_mul_f64 v[217:218], v[144:145], s[52:53]
	v_add_f64 v[28:29], v[207:208], v[36:37]
	v_add_f64 v[36:37], v[205:206], v[34:35]
	;; [unrolled: 1-line block ×3, first 2 shown]
	v_fma_f64 v[42:43], v[104:105], s[20:21], -v[42:43]
	v_add_f64 v[44:45], v[195:196], v[189:190]
	v_fma_f64 v[189:190], v[176:177], s[34:35], -v[191:192]
	v_fma_f64 v[191:192], v[96:97], s[16:17], -v[182:183]
	v_mul_f64 v[195:196], v[134:135], s[52:53]
	v_add_f64 v[32:33], v[203:204], v[32:33]
	v_fma_f64 v[38:39], v[82:83], s[20:21], v[217:218]
	v_mul_f64 v[203:204], v[114:115], s[42:43]
	v_fma_f64 v[199:200], v[102:103], s[20:21], v[199:200]
	v_fma_f64 v[197:198], v[94:95], s[0:1], -v[197:198]
	v_add_f64 v[189:190], v[2:3], v[189:190]
	v_add_f64 v[44:45], v[191:192], v[44:45]
	v_fma_f64 v[191:192], v[72:73], s[20:21], -v[195:196]
	v_fma_f64 v[193:194], v[88:89], s[30:31], -v[193:194]
	v_add_f64 v[38:39], v[38:39], v[34:35]
	v_fma_f64 v[205:206], v[104:105], s[22:23], v[203:204]
	v_add_f64 v[34:35], v[42:43], v[32:33]
	v_add_f64 v[32:33], v[199:200], v[36:37]
	v_mul_f64 v[36:37], v[40:41], s[50:51]
	v_add_f64 v[189:190], v[197:198], v[189:190]
	v_add_f64 v[44:45], v[191:192], v[44:45]
	v_mul_f64 v[191:192], v[178:179], s[50:51]
	v_fma_f64 v[199:200], v[174:175], s[34:35], v[201:202]
	v_add_f64 v[38:39], v[205:206], v[38:39]
	v_mul_f64 v[205:206], v[154:155], s[24:25]
	v_fma_f64 v[187:188], v[66:67], s[6:7], -v[187:188]
	v_fma_f64 v[201:202], v[176:177], s[26:27], v[36:37]
	v_add_f64 v[189:190], v[193:194], v[189:190]
	v_fma_f64 v[193:194], v[74:75], s[0:1], v[211:212]
	v_fma_f64 v[207:208], v[174:175], s[26:27], -v[191:192]
	v_mul_f64 v[211:212], v[132:133], s[24:25]
	v_add_f64 v[199:200], v[0:1], v[199:200]
	s_mov_b32 s53, 0x3fc7851a
	s_mov_b32 s52, s8
	v_add_f64 v[201:202], v[2:3], v[201:202]
	v_fma_f64 v[219:220], v[94:95], s[20:21], v[205:206]
	v_mul_f64 v[221:222], v[150:151], s[52:53]
	v_add_f64 v[207:208], v[0:1], v[207:208]
	v_fma_f64 v[223:224], v[74:75], s[20:21], -v[211:212]
	v_mul_f64 v[225:226], v[122:123], s[52:53]
	v_add_f64 v[187:188], v[187:188], v[189:190]
	v_add_f64 v[189:190], v[193:194], v[199:200]
	v_fma_f64 v[193:194], v[60:61], s[30:31], v[213:214]
	v_add_f64 v[199:200], v[219:220], v[201:202]
	v_fma_f64 v[201:202], v[88:89], s[0:1], v[221:222]
	v_mul_f64 v[213:214], v[138:139], s[40:41]
	v_add_f64 v[207:208], v[223:224], v[207:208]
	v_fma_f64 v[219:220], v[60:61], s[0:1], -v[225:226]
	v_mul_f64 v[223:224], v[118:119], s[40:41]
	v_fma_f64 v[180:181], v[84:85], s[26:27], -v[180:181]
	v_add_f64 v[189:190], v[193:194], v[189:190]
	v_fma_f64 v[193:194], v[54:55], s[6:7], v[215:216]
	v_add_f64 v[199:200], v[201:202], v[199:200]
	v_fma_f64 v[201:202], v[66:67], s[30:31], v[213:214]
	v_mul_f64 v[215:216], v[136:137], s[42:43]
	v_add_f64 v[207:208], v[219:220], v[207:208]
	v_fma_f64 v[219:220], v[54:55], s[30:31], -v[223:224]
	v_mul_f64 v[227:228], v[120:121], s[42:43]
	v_add_f64 v[180:181], v[180:181], v[187:188]
	v_add_f64 v[187:188], v[193:194], v[189:190]
	v_fma_f64 v[189:190], v[62:63], s[26:27], v[209:210]
	v_add_f64 v[193:194], v[201:202], v[199:200]
	v_fma_f64 v[199:200], v[84:85], s[22:23], v[215:216]
	v_mul_f64 v[201:202], v[142:143], s[44:45]
	v_add_f64 v[207:208], v[219:220], v[207:208]
	v_fma_f64 v[209:210], v[62:63], s[22:23], -v[227:228]
	v_mul_f64 v[219:220], v[130:131], s[44:45]
	v_fma_f64 v[182:183], v[96:97], s[16:17], v[182:183]
	v_add_f64 v[187:188], v[189:190], v[187:188]
	v_mul_f64 v[42:43], v[110:111], s[42:43]
	v_fma_f64 v[46:47], v[98:99], s[16:17], -v[46:47]
	v_add_f64 v[189:190], v[199:200], v[193:194]
	v_fma_f64 v[193:194], v[98:99], s[6:7], v[201:202]
	v_mul_f64 v[199:200], v[144:145], s[38:39]
	v_add_f64 v[207:208], v[209:210], v[207:208]
	v_fma_f64 v[209:210], v[96:97], s[6:7], -v[219:220]
	v_mul_f64 v[229:230], v[134:135], s[38:39]
	v_add_f64 v[187:188], v[182:183], v[187:188]
	v_fma_f64 v[195:196], v[72:73], s[20:21], v[195:196]
	v_fma_f64 v[197:198], v[102:103], s[22:23], -v[42:43]
	v_add_f64 v[46:47], v[46:47], v[180:181]
	v_fma_f64 v[217:218], v[82:83], s[20:21], -v[217:218]
	v_add_f64 v[189:190], v[193:194], v[189:190]
	v_fma_f64 v[193:194], v[82:83], s[34:35], v[199:200]
	v_add_f64 v[207:208], v[209:210], v[207:208]
	v_mul_f64 v[182:183], v[114:115], s[18:19]
	v_fma_f64 v[209:210], v[72:73], s[34:35], -v[229:230]
	v_mul_f64 v[180:181], v[110:111], s[18:19]
	v_add_f64 v[187:188], v[195:196], v[187:188]
	v_fma_f64 v[42:43], v[102:103], s[22:23], v[42:43]
	v_add_f64 v[46:47], v[217:218], v[46:47]
	v_fma_f64 v[195:196], v[104:105], s[22:23], -v[203:204]
	v_add_f64 v[189:190], v[193:194], v[189:190]
	v_fma_f64 v[193:194], v[104:105], s[16:17], v[182:183]
	v_add_f64 v[203:204], v[209:210], v[207:208]
	v_fma_f64 v[207:208], v[102:103], s[16:17], -v[180:181]
	v_fma_f64 v[209:210], v[176:177], s[26:27], -v[36:37]
	v_add_f64 v[36:37], v[197:198], v[44:45]
	v_mul_f64 v[197:198], v[40:41], s[46:47]
	v_add_f64 v[44:45], v[42:43], v[187:188]
	v_mul_f64 v[187:188], v[40:41], s[44:45]
	v_add_f64 v[46:47], v[195:196], v[46:47]
	v_add_f64 v[42:43], v[193:194], v[189:190]
	;; [unrolled: 1-line block ×4, first 2 shown]
	v_fma_f64 v[193:194], v[94:95], s[20:21], -v[205:206]
	v_fma_f64 v[195:196], v[176:177], s[22:23], -v[197:198]
	v_mul_f64 v[203:204], v[178:179], s[46:47]
	v_fma_f64 v[197:198], v[176:177], s[22:23], v[197:198]
	v_mul_f64 v[178:179], v[178:179], s[44:45]
	v_fma_f64 v[205:206], v[176:177], s[6:7], v[187:188]
	v_fma_f64 v[176:177], v[176:177], s[6:7], -v[187:188]
	v_fma_f64 v[191:192], v[174:175], s[26:27], v[191:192]
	v_add_f64 v[187:188], v[193:194], v[189:190]
	v_add_f64 v[195:196], v[2:3], v[195:196]
	v_fma_f64 v[193:194], v[174:175], s[22:23], v[203:204]
	v_fma_f64 v[203:204], v[174:175], s[22:23], -v[203:204]
	v_fma_f64 v[207:208], v[174:175], s[6:7], -v[178:179]
	v_fma_f64 v[174:175], v[174:175], s[6:7], v[178:179]
	v_add_f64 v[197:198], v[2:3], v[197:198]
	v_add_f64 v[205:206], v[2:3], v[205:206]
	;; [unrolled: 1-line block ×10, first 2 shown]
	v_fma_f64 v[191:192], v[74:75], s[20:21], v[211:212]
	v_add_f64 v[2:3], v[2:3], v[166:167]
	v_fma_f64 v[189:190], v[88:89], s[0:1], -v[221:222]
	v_mul_f64 v[209:210], v[154:155], s[38:39]
	v_mul_f64 v[170:171], v[132:133], s[38:39]
	v_fma_f64 v[199:200], v[82:83], s[34:35], -v[199:200]
	v_add_f64 v[0:1], v[0:1], v[162:163]
	v_add_f64 v[178:179], v[191:192], v[178:179]
	;; [unrolled: 1-line block ×3, first 2 shown]
	v_fma_f64 v[191:192], v[60:61], s[0:1], v[225:226]
	v_add_f64 v[187:188], v[189:190], v[187:188]
	v_fma_f64 v[189:190], v[66:67], s[30:31], -v[213:214]
	v_fma_f64 v[211:212], v[94:95], s[34:35], -v[209:210]
	v_mul_f64 v[213:214], v[150:151], s[24:25]
	v_add_f64 v[0:1], v[0:1], v[156:157]
	v_mul_f64 v[150:151], v[150:151], s[50:51]
	v_add_f64 v[2:3], v[2:3], v[152:153]
	v_add_f64 v[178:179], v[191:192], v[178:179]
	v_fma_f64 v[191:192], v[54:55], s[30:31], v[223:224]
	v_add_f64 v[187:188], v[189:190], v[187:188]
	v_add_f64 v[195:196], v[211:212], v[195:196]
	v_mul_f64 v[211:212], v[138:139], s[8:9]
	v_add_f64 v[0:1], v[0:1], v[146:147]
	v_mul_f64 v[146:147], v[154:155], s[46:47]
	;; [unrolled: 2-line block ×3, first 2 shown]
	v_add_f64 v[172:173], v[191:192], v[178:179]
	v_fma_f64 v[178:179], v[62:63], s[22:23], v[227:228]
	v_fma_f64 v[189:190], v[84:85], s[22:23], -v[215:216]
	v_mul_f64 v[215:216], v[142:143], s[40:41]
	v_add_f64 v[0:1], v[0:1], v[128:129]
	v_fma_f64 v[128:129], v[94:95], s[22:23], -v[146:147]
	v_add_f64 v[2:3], v[2:3], v[126:127]
	v_mul_f64 v[142:143], v[142:143], s[24:25]
	v_fma_f64 v[191:192], v[66:67], s[0:1], -v[211:212]
	v_add_f64 v[172:173], v[178:179], v[172:173]
	v_mul_f64 v[178:179], v[122:123], s[24:25]
	v_add_f64 v[187:188], v[189:190], v[187:188]
	v_add_f64 v[0:1], v[0:1], v[116:117]
	v_mul_f64 v[116:117], v[132:133], s[46:47]
	v_add_f64 v[2:3], v[2:3], v[164:165]
	v_add_f64 v[128:129], v[128:129], v[176:177]
	v_fma_f64 v[132:133], v[88:89], s[26:27], -v[150:151]
	v_fma_f64 v[189:190], v[98:99], s[6:7], -v[201:202]
	;; [unrolled: 1-line block ×3, first 2 shown]
	v_fma_f64 v[166:167], v[74:75], s[34:35], v[170:171]
	v_add_f64 v[0:1], v[0:1], v[112:113]
	v_mul_f64 v[112:113], v[122:123], s[50:51]
	v_add_f64 v[2:3], v[2:3], v[108:109]
	v_fma_f64 v[108:109], v[74:75], s[22:23], v[116:117]
	v_add_f64 v[122:123], v[132:133], v[128:129]
	v_fma_f64 v[128:129], v[66:67], s[34:35], -v[138:139]
	v_mul_f64 v[132:133], v[136:137], s[36:37]
	v_add_f64 v[187:188], v[189:190], v[187:188]
	v_add_f64 v[0:1], v[0:1], v[106:107]
	;; [unrolled: 1-line block ×4, first 2 shown]
	v_mul_f64 v[195:196], v[136:137], s[48:49]
	v_add_f64 v[160:161], v[166:167], v[193:194]
	v_add_f64 v[122:123], v[128:129], v[122:123]
	v_fma_f64 v[128:129], v[84:85], s[30:31], -v[132:133]
	v_fma_f64 v[162:163], v[60:61], s[20:21], v[178:179]
	v_add_f64 v[0:1], v[0:1], v[158:159]
	v_add_f64 v[189:190], v[191:192], v[189:190]
	;; [unrolled: 1-line block ×3, first 2 shown]
	v_fma_f64 v[191:192], v[84:85], s[16:17], -v[195:196]
	v_mul_f64 v[166:167], v[118:119], s[8:9]
	v_add_f64 v[106:107], v[108:109], v[174:175]
	v_add_f64 v[122:123], v[128:129], v[122:123]
	v_fma_f64 v[128:129], v[98:99], s[20:21], -v[142:143]
	v_add_f64 v[0:1], v[0:1], v[100:101]
	v_mul_f64 v[100:101], v[144:145], s[18:19]
	v_add_f64 v[2:3], v[2:3], v[124:125]
	v_fma_f64 v[124:125], v[94:95], s[34:35], v[209:210]
	v_fma_f64 v[108:109], v[60:61], s[26:27], v[112:113]
	v_mul_f64 v[118:119], v[118:119], s[38:39]
	v_add_f64 v[189:190], v[191:192], v[189:190]
	v_add_f64 v[122:123], v[128:129], v[122:123]
	;; [unrolled: 1-line block ×3, first 2 shown]
	v_fma_f64 v[90:91], v[82:83], s[16:17], -v[100:101]
	v_add_f64 v[2:3], v[2:3], v[92:93]
	v_add_f64 v[92:93], v[124:125], v[197:198]
	v_fma_f64 v[124:125], v[88:89], s[20:21], v[213:214]
	v_fma_f64 v[152:153], v[98:99], s[30:31], -v[215:216]
	v_add_f64 v[156:157], v[162:163], v[160:161]
	v_fma_f64 v[160:161], v[54:55], s[0:1], v[166:167]
	v_add_f64 v[0:1], v[0:1], v[86:87]
	v_add_f64 v[86:87], v[90:91], v[122:123]
	v_fma_f64 v[90:91], v[74:75], s[34:35], -v[170:171]
	v_add_f64 v[2:3], v[2:3], v[70:71]
	v_add_f64 v[70:71], v[124:125], v[92:93]
	v_fma_f64 v[92:93], v[66:67], s[0:1], v[211:212]
	v_fma_f64 v[74:75], v[74:75], s[22:23], -v[116:117]
	v_mul_f64 v[162:163], v[120:121], s[48:49]
	v_add_f64 v[0:1], v[0:1], v[68:69]
	v_fma_f64 v[68:69], v[94:95], s[22:23], v[146:147]
	v_add_f64 v[90:91], v[90:91], v[203:204]
	v_fma_f64 v[94:95], v[60:61], s[20:21], -v[178:179]
	v_add_f64 v[2:3], v[2:3], v[64:65]
	v_add_f64 v[64:65], v[92:93], v[70:71]
	v_fma_f64 v[70:71], v[84:85], s[16:17], v[195:196]
	v_add_f64 v[106:107], v[108:109], v[106:107]
	v_fma_f64 v[108:109], v[54:55], s[34:35], v[118:119]
	v_mul_f64 v[120:121], v[120:121], s[36:37]
	v_fma_f64 v[88:89], v[88:89], s[26:27], v[150:151]
	v_add_f64 v[68:69], v[68:69], v[205:206]
	v_add_f64 v[90:91], v[94:95], v[90:91]
	v_fma_f64 v[94:95], v[54:55], s[0:1], -v[166:167]
	v_add_f64 v[0:1], v[0:1], v[52:53]
	v_add_f64 v[52:53], v[70:71], v[64:65]
	v_fma_f64 v[60:61], v[60:61], s[26:27], -v[112:113]
	v_add_f64 v[70:71], v[74:75], v[207:208]
	v_add_f64 v[140:141], v[152:153], v[189:190]
	;; [unrolled: 1-line block ×3, first 2 shown]
	v_fma_f64 v[154:155], v[62:63], s[16:17], v[162:163]
	v_mul_f64 v[156:157], v[130:131], s[40:41]
	v_add_f64 v[106:107], v[108:109], v[106:107]
	v_fma_f64 v[108:109], v[62:63], s[30:31], v[120:121]
	v_mul_f64 v[130:131], v[130:131], s[24:25]
	v_fma_f64 v[64:65], v[98:99], s[30:31], v[215:216]
	v_fma_f64 v[66:67], v[66:67], s[34:35], v[138:139]
	v_add_f64 v[68:69], v[88:89], v[68:69]
	v_add_f64 v[74:75], v[94:95], v[90:91]
	;; [unrolled: 1-line block ×3, first 2 shown]
	v_fma_f64 v[54:55], v[54:55], s[34:35], -v[118:119]
	v_add_f64 v[58:59], v[60:61], v[70:71]
	v_fma_f64 v[88:89], v[62:63], s[16:17], -v[162:163]
	v_add_f64 v[152:153], v[154:155], v[152:153]
	v_fma_f64 v[154:155], v[96:97], s[30:31], v[156:157]
	v_add_f64 v[106:107], v[108:109], v[106:107]
	v_fma_f64 v[108:109], v[96:97], s[20:21], v[130:131]
	v_mul_f64 v[128:129], v[134:135], s[18:19]
	v_add_f64 v[64:65], v[64:65], v[52:53]
	v_fma_f64 v[2:3], v[84:85], s[30:31], v[132:133]
	v_add_f64 v[52:53], v[66:67], v[68:69]
	v_fma_f64 v[62:63], v[62:63], s[30:31], -v[120:121]
	v_add_f64 v[54:55], v[54:55], v[58:59]
	v_add_f64 v[66:67], v[88:89], v[74:75]
	v_mul_f64 v[70:71], v[114:115], s[8:9]
	v_fma_f64 v[74:75], v[96:97], s[30:31], -v[156:157]
	v_mul_f64 v[193:194], v[144:145], s[28:29]
	v_add_f64 v[152:153], v[154:155], v[152:153]
	v_mul_f64 v[154:155], v[134:135], s[28:29]
	v_fma_f64 v[201:202], v[96:97], s[6:7], v[219:220]
	v_add_f64 v[106:107], v[108:109], v[106:107]
	v_fma_f64 v[108:109], v[72:73], s[16:17], v[128:129]
	v_fma_f64 v[68:69], v[98:99], s[20:21], v[142:143]
	v_add_f64 v[84:85], v[2:3], v[52:53]
	v_fma_f64 v[96:97], v[96:97], s[20:21], -v[130:131]
	v_add_f64 v[54:55], v[62:63], v[54:55]
	v_fma_f64 v[58:59], v[104:105], s[0:1], -v[70:71]
	v_add_f64 v[66:67], v[74:75], v[66:67]
	v_mul_f64 v[74:75], v[110:111], s[8:9]
	v_fma_f64 v[160:161], v[82:83], s[26:27], -v[193:194]
	v_fma_f64 v[136:137], v[72:73], s[26:27], v[154:155]
	v_mul_f64 v[60:61], v[114:115], s[14:15]
	v_mul_f64 v[88:89], v[110:111], s[14:15]
	v_add_f64 v[172:173], v[201:202], v[172:173]
	v_fma_f64 v[191:192], v[72:73], s[34:35], v[229:230]
	v_add_f64 v[92:93], v[108:109], v[106:107]
	v_fma_f64 v[106:107], v[82:83], s[26:27], v[193:194]
	v_fma_f64 v[108:109], v[72:73], s[26:27], -v[154:155]
	v_add_f64 v[0:1], v[0:1], v[56:57]
	v_fma_f64 v[56:57], v[82:83], s[16:17], v[100:101]
	v_add_f64 v[68:69], v[68:69], v[84:85]
	v_add_f64 v[62:63], v[90:91], v[50:51]
	v_fma_f64 v[50:51], v[72:73], s[16:17], -v[128:129]
	v_add_f64 v[54:55], v[96:97], v[54:55]
	v_add_f64 v[58:59], v[58:59], v[86:87]
	v_fma_f64 v[86:87], v[102:103], s[0:1], v[74:75]
	v_add_f64 v[140:141], v[160:161], v[140:141]
	v_add_f64 v[136:137], v[136:137], v[152:153]
	v_fma_f64 v[52:53], v[104:105], s[6:7], -v[60:61]
	v_fma_f64 v[98:99], v[102:103], s[6:7], v[88:89]
	v_add_f64 v[187:188], v[199:200], v[187:188]
	v_add_f64 v[126:127], v[191:192], v[172:173]
	v_fma_f64 v[2:3], v[104:105], s[16:17], -v[182:183]
	v_fma_f64 v[94:95], v[102:103], s[16:17], v[180:181]
	v_add_f64 v[64:65], v[106:107], v[64:65]
	v_add_f64 v[72:73], v[108:109], v[66:67]
	v_fma_f64 v[66:67], v[104:105], s[6:7], v[60:61]
	v_fma_f64 v[70:71], v[104:105], s[0:1], v[70:71]
	v_add_f64 v[68:69], v[56:57], v[68:69]
	v_fma_f64 v[82:83], v[102:103], s[6:7], -v[88:89]
	v_fma_f64 v[74:75], v[102:103], s[0:1], -v[74:75]
	v_add_f64 v[54:55], v[50:51], v[54:55]
	v_add_f64 v[60:61], v[0:1], v[48:49]
	v_add_f64 v[56:57], v[86:87], v[92:93]
	v_add_f64 v[52:53], v[52:53], v[140:141]
	v_add_f64 v[50:51], v[98:99], v[136:137]
	v_add_f64 v[2:3], v[2:3], v[187:188]
	v_add_f64 v[0:1], v[94:95], v[126:127]
	v_add_f64 v[66:67], v[66:67], v[64:65]
	v_add_f64 v[64:65], v[82:83], v[72:73]
	v_add_f64 v[70:71], v[70:71], v[68:69]
	v_add_f64 v[68:69], v[74:75], v[54:55]
	ds_write_b128 v185, v[60:63]
	ds_write_b128 v186, v[56:59] offset:256
	ds_write_b128 v186, v[50:53] offset:512
	ds_write_b128 v186, v[0:3] offset:768
	ds_write_b128 v186, v[44:47] offset:1024
	ds_write_b128 v186, v[32:35] offset:1280
	ds_write_b128 v186, v[24:27] offset:1536
	ds_write_b128 v186, v[20:23] offset:1792
	ds_write_b128 v186, v[8:11] offset:2048
	ds_write_b128 v186, v[4:7] offset:2304
	ds_write_b128 v186, v[12:15] offset:2560
	ds_write_b128 v186, v[16:19] offset:2816
	ds_write_b128 v186, v[28:31] offset:3072
	ds_write_b128 v186, v[36:39] offset:3328
	ds_write_b128 v186, v[40:43] offset:3584
	ds_write_b128 v186, v[64:67] offset:3840
	ds_write_b128 v186, v[68:71] offset:4096
.LBB0_16:
	s_or_b64 exec, exec, s[4:5]
	s_waitcnt lgkmcnt(0)
	s_barrier
	ds_read_b128 v[0:3], v185
	s_add_u32 s6, s12, 0x1000
	s_addc_u32 s7, s13, 0
	v_sub_u32_e32 v10, v184, v79
	v_cmp_ne_u32_e64 s[0:1], 0, v78
                                        ; implicit-def: $vgpr6_vgpr7
                                        ; implicit-def: $vgpr4_vgpr5
                                        ; implicit-def: $vgpr8_vgpr9
	s_and_saveexec_b64 s[4:5], s[0:1]
	s_xor_b64 s[4:5], exec, s[4:5]
	s_cbranch_execz .LBB0_18
; %bb.17:
	v_mov_b32_e32 v79, 0
	v_lshlrev_b64 v[4:5], 4, v[78:79]
	v_mov_b32_e32 v6, s7
	v_add_co_u32_e64 v4, s[0:1], s6, v4
	v_addc_co_u32_e64 v5, s[0:1], v6, v5, s[0:1]
	global_load_dwordx4 v[6:9], v[4:5], off
	ds_read_b128 v[11:14], v10 offset:4352
	s_waitcnt lgkmcnt(0)
	v_add_f64 v[4:5], v[0:1], -v[11:12]
	v_add_f64 v[15:16], v[2:3], v[13:14]
	v_add_f64 v[2:3], v[2:3], -v[13:14]
	v_add_f64 v[0:1], v[0:1], v[11:12]
	v_mul_f64 v[4:5], v[4:5], 0.5
	v_mul_f64 v[13:14], v[15:16], 0.5
	;; [unrolled: 1-line block ×3, first 2 shown]
	s_waitcnt vmcnt(0)
	v_mul_f64 v[11:12], v[4:5], v[8:9]
	v_fma_f64 v[15:16], v[13:14], v[8:9], v[2:3]
	v_fma_f64 v[2:3], v[13:14], v[8:9], -v[2:3]
	v_fma_f64 v[8:9], v[0:1], 0.5, v[11:12]
	v_fma_f64 v[0:1], v[0:1], 0.5, -v[11:12]
	v_fma_f64 v[11:12], -v[6:7], v[4:5], v[15:16]
	v_fma_f64 v[2:3], -v[6:7], v[4:5], v[2:3]
	ds_write_b64 v185, v[11:12] offset:8
	ds_write_b64 v10, v[2:3] offset:4360
	v_fma_f64 v[4:5], v[13:14], v[6:7], v[8:9]
	v_mov_b32_e32 v8, v78
	v_fma_f64 v[6:7], -v[13:14], v[6:7], v[0:1]
	v_mov_b32_e32 v9, v79
                                        ; implicit-def: $vgpr0_vgpr1
.LBB0_18:
	s_andn2_saveexec_b64 s[0:1], s[4:5]
	s_cbranch_execz .LBB0_20
; %bb.19:
	s_mov_b32 s4, 0
	s_mov_b32 s5, s4
	v_mov_b32_e32 v9, s5
	s_waitcnt lgkmcnt(0)
	v_add_f64 v[4:5], v[0:1], v[2:3]
	v_mov_b32_e32 v8, s4
	v_add_f64 v[6:7], v[0:1], -v[2:3]
	ds_write_b64 v185, v[8:9] offset:8
	ds_write_b64 v10, v[8:9] offset:4360
	ds_read_b64 v[0:1], v184 offset:2184
	v_mov_b32_e32 v8, 0
	v_mov_b32_e32 v9, 0
	s_waitcnt lgkmcnt(0)
	v_xor_b32_e32 v1, 0x80000000, v1
	ds_write_b64 v184, v[0:1] offset:2184
.LBB0_20:
	s_or_b64 exec, exec, s[0:1]
	s_waitcnt lgkmcnt(0)
	v_lshlrev_b64 v[0:1], 4, v[8:9]
	v_mov_b32_e32 v2, s7
	v_add_co_u32_e64 v19, s[0:1], s6, v0
	v_addc_co_u32_e64 v20, s[0:1], v2, v1, s[0:1]
	global_load_dwordx4 v[0:3], v[19:20], off offset:272
	global_load_dwordx4 v[11:14], v[19:20], off offset:544
	ds_write_b64 v185, v[4:5]
	ds_write_b64 v10, v[6:7] offset:4352
	v_xor_b32_e32 v4, 0xff, v78
	v_lshl_add_u32 v27, v4, 4, v184
	ds_read_b128 v[4:7], v185 offset:272
	ds_read_b128 v[15:18], v27
	s_waitcnt lgkmcnt(0)
	v_add_f64 v[8:9], v[4:5], -v[15:16]
	v_add_f64 v[21:22], v[6:7], v[17:18]
	v_add_f64 v[6:7], v[6:7], -v[17:18]
	v_add_f64 v[4:5], v[4:5], v[15:16]
	v_mul_f64 v[17:18], v[8:9], 0.5
	v_mul_f64 v[21:22], v[21:22], 0.5
	;; [unrolled: 1-line block ×3, first 2 shown]
	s_waitcnt vmcnt(1)
	v_mul_f64 v[8:9], v[17:18], v[2:3]
	v_fma_f64 v[15:16], v[21:22], v[2:3], v[6:7]
	v_fma_f64 v[6:7], v[21:22], v[2:3], -v[6:7]
	v_fma_f64 v[23:24], v[4:5], 0.5, v[8:9]
	v_fma_f64 v[25:26], v[4:5], 0.5, -v[8:9]
	global_load_dwordx4 v[2:5], v[19:20], off offset:816
	v_fma_f64 v[8:9], -v[0:1], v[17:18], v[15:16]
	v_fma_f64 v[17:18], -v[0:1], v[17:18], v[6:7]
	v_fma_f64 v[6:7], v[21:22], v[0:1], v[23:24]
	v_fma_f64 v[15:16], -v[21:22], v[0:1], v[25:26]
	ds_write_b128 v185, v[6:9] offset:272
	ds_write_b128 v27, v[15:18]
	ds_read_b128 v[6:9], v185 offset:544
	ds_read_b128 v[15:18], v10 offset:3808
	s_waitcnt lgkmcnt(0)
	v_add_f64 v[0:1], v[6:7], -v[15:16]
	v_add_f64 v[21:22], v[8:9], v[17:18]
	v_add_f64 v[8:9], v[8:9], -v[17:18]
	v_add_f64 v[6:7], v[6:7], v[15:16]
	v_mul_f64 v[0:1], v[0:1], 0.5
	v_mul_f64 v[17:18], v[21:22], 0.5
	v_mul_f64 v[8:9], v[8:9], 0.5
	s_waitcnt vmcnt(1)
	v_mul_f64 v[15:16], v[0:1], v[13:14]
	v_fma_f64 v[21:22], v[17:18], v[13:14], v[8:9]
	v_fma_f64 v[13:14], v[17:18], v[13:14], -v[8:9]
	v_fma_f64 v[23:24], v[6:7], 0.5, v[15:16]
	v_fma_f64 v[15:16], v[6:7], 0.5, -v[15:16]
	global_load_dwordx4 v[6:9], v[19:20], off offset:1088
	v_fma_f64 v[21:22], -v[11:12], v[0:1], v[21:22]
	v_fma_f64 v[13:14], -v[11:12], v[0:1], v[13:14]
	v_fma_f64 v[0:1], v[17:18], v[11:12], v[23:24]
	v_fma_f64 v[11:12], -v[17:18], v[11:12], v[15:16]
	ds_write2_b64 v185, v[0:1], v[21:22] offset0:68 offset1:69
	ds_write_b128 v10, v[11:14] offset:3808
	ds_read_b128 v[11:14], v185 offset:816
	ds_read_b128 v[15:18], v10 offset:3536
	s_waitcnt lgkmcnt(0)
	v_add_f64 v[0:1], v[11:12], -v[15:16]
	v_add_f64 v[21:22], v[13:14], v[17:18]
	v_add_f64 v[13:14], v[13:14], -v[17:18]
	v_add_f64 v[11:12], v[11:12], v[15:16]
	v_mul_f64 v[0:1], v[0:1], 0.5
	v_mul_f64 v[17:18], v[21:22], 0.5
	v_mul_f64 v[13:14], v[13:14], 0.5
	s_waitcnt vmcnt(1)
	v_mul_f64 v[15:16], v[0:1], v[4:5]
	v_fma_f64 v[21:22], v[17:18], v[4:5], v[13:14]
	v_fma_f64 v[4:5], v[17:18], v[4:5], -v[13:14]
	v_fma_f64 v[23:24], v[11:12], 0.5, v[15:16]
	v_fma_f64 v[15:16], v[11:12], 0.5, -v[15:16]
	global_load_dwordx4 v[11:14], v[19:20], off offset:1360
	v_fma_f64 v[21:22], -v[2:3], v[0:1], v[21:22]
	v_fma_f64 v[4:5], -v[2:3], v[0:1], v[4:5]
	v_fma_f64 v[0:1], v[17:18], v[2:3], v[23:24]
	v_fma_f64 v[2:3], -v[17:18], v[2:3], v[15:16]
	ds_write2_b64 v185, v[0:1], v[21:22] offset0:102 offset1:103
	ds_write_b128 v10, v[2:5] offset:3536
	;; [unrolled: 23-line block ×4, first 2 shown]
	ds_read_b128 v[11:14], v185 offset:1632
	ds_read_b128 v[15:18], v10 offset:2720
	s_waitcnt lgkmcnt(0)
	v_add_f64 v[8:9], v[11:12], -v[15:16]
	v_add_f64 v[19:20], v[13:14], v[17:18]
	v_add_f64 v[13:14], v[13:14], -v[17:18]
	v_add_f64 v[11:12], v[11:12], v[15:16]
	v_mul_f64 v[8:9], v[8:9], 0.5
	v_mul_f64 v[17:18], v[19:20], 0.5
	;; [unrolled: 1-line block ×3, first 2 shown]
	s_waitcnt vmcnt(1)
	v_mul_f64 v[15:16], v[8:9], v[2:3]
	v_fma_f64 v[19:20], v[17:18], v[2:3], v[13:14]
	v_fma_f64 v[2:3], v[17:18], v[2:3], -v[13:14]
	v_fma_f64 v[13:14], v[11:12], 0.5, v[15:16]
	v_fma_f64 v[11:12], v[11:12], 0.5, -v[15:16]
	v_fma_f64 v[15:16], -v[0:1], v[8:9], v[19:20]
	v_fma_f64 v[2:3], -v[0:1], v[8:9], v[2:3]
	v_fma_f64 v[8:9], v[17:18], v[0:1], v[13:14]
	v_fma_f64 v[0:1], -v[17:18], v[0:1], v[11:12]
	ds_write2_b64 v185, v[8:9], v[15:16] offset0:204 offset1:205
	ds_write_b128 v10, v[0:3] offset:2720
	ds_read_b128 v[0:3], v185 offset:1904
	ds_read_b128 v[11:14], v10 offset:2448
	s_waitcnt lgkmcnt(0)
	v_add_f64 v[8:9], v[0:1], -v[11:12]
	v_add_f64 v[15:16], v[2:3], v[13:14]
	v_add_f64 v[2:3], v[2:3], -v[13:14]
	v_add_f64 v[0:1], v[0:1], v[11:12]
	v_mul_f64 v[8:9], v[8:9], 0.5
	v_mul_f64 v[13:14], v[15:16], 0.5
	;; [unrolled: 1-line block ×3, first 2 shown]
	s_waitcnt vmcnt(0)
	v_mul_f64 v[11:12], v[8:9], v[6:7]
	v_fma_f64 v[15:16], v[13:14], v[6:7], v[2:3]
	v_fma_f64 v[2:3], v[13:14], v[6:7], -v[2:3]
	v_fma_f64 v[6:7], v[0:1], 0.5, v[11:12]
	v_fma_f64 v[0:1], v[0:1], 0.5, -v[11:12]
	v_fma_f64 v[11:12], -v[4:5], v[8:9], v[15:16]
	v_fma_f64 v[2:3], -v[4:5], v[8:9], v[2:3]
	v_fma_f64 v[6:7], v[13:14], v[4:5], v[6:7]
	v_fma_f64 v[0:1], -v[13:14], v[4:5], v[0:1]
	ds_write2_b64 v185, v[6:7], v[11:12] offset0:238 offset1:239
	ds_write_b128 v10, v[0:3] offset:2448
	s_waitcnt lgkmcnt(0)
	s_barrier
	s_and_saveexec_b64 s[0:1], vcc
	s_cbranch_execz .LBB0_23
; %bb.21:
	v_mul_lo_u32 v0, s3, v80
	v_mul_lo_u32 v3, s2, v81
	v_mad_u64_u32 v[1:2], s[0:1], s2, v80, 0
	v_mov_b32_e32 v7, s11
	v_mov_b32_e32 v79, 0
	v_add3_u32 v2, v2, v3, v0
	v_lshlrev_b64 v[1:2], 4, v[1:2]
	v_lshl_add_u32 v0, v78, 4, v184
	v_add_co_u32_e32 v1, vcc, s10, v1
	v_addc_co_u32_e32 v9, vcc, v7, v2, vcc
	v_lshlrev_b64 v[7:8], 4, v[76:77]
	ds_read_b128 v[3:6], v0
	v_add_co_u32_e32 v2, vcc, v1, v7
	v_addc_co_u32_e32 v1, vcc, v9, v8, vcc
	v_lshlrev_b64 v[7:8], 4, v[78:79]
	v_add_co_u32_e32 v11, vcc, v2, v7
	v_addc_co_u32_e32 v12, vcc, v1, v8, vcc
	ds_read_b128 v[7:10], v0 offset:272
	s_waitcnt lgkmcnt(1)
	global_store_dwordx4 v[11:12], v[3:6], off
	s_nop 0
	v_add_u32_e32 v3, 17, v78
	v_mov_b32_e32 v4, v79
	v_lshlrev_b64 v[3:4], 4, v[3:4]
	v_add_co_u32_e32 v3, vcc, v2, v3
	v_addc_co_u32_e32 v4, vcc, v1, v4, vcc
	s_waitcnt lgkmcnt(0)
	global_store_dwordx4 v[3:4], v[7:10], off
	ds_read_b128 v[3:6], v0 offset:544
	v_add_u32_e32 v7, 34, v78
	v_mov_b32_e32 v8, v79
	v_lshlrev_b64 v[7:8], 4, v[7:8]
	v_add_co_u32_e32 v11, vcc, v2, v7
	v_addc_co_u32_e32 v12, vcc, v1, v8, vcc
	ds_read_b128 v[7:10], v0 offset:816
	s_waitcnt lgkmcnt(1)
	global_store_dwordx4 v[11:12], v[3:6], off
	s_nop 0
	v_add_u32_e32 v3, 51, v78
	v_mov_b32_e32 v4, v79
	v_lshlrev_b64 v[3:4], 4, v[3:4]
	v_add_co_u32_e32 v3, vcc, v2, v3
	v_addc_co_u32_e32 v4, vcc, v1, v4, vcc
	s_waitcnt lgkmcnt(0)
	global_store_dwordx4 v[3:4], v[7:10], off
	ds_read_b128 v[3:6], v0 offset:1088
	v_add_u32_e32 v7, 0x44, v78
	v_mov_b32_e32 v8, v79
	;; [unrolled: 17-line block ×7, first 2 shown]
	v_lshlrev_b64 v[7:8], 4, v[7:8]
	v_add_co_u32_e32 v11, vcc, v2, v7
	v_addc_co_u32_e32 v12, vcc, v1, v8, vcc
	ds_read_b128 v[7:10], v0 offset:4080
	s_waitcnt lgkmcnt(1)
	global_store_dwordx4 v[11:12], v[3:6], off
	s_nop 0
	v_add_u32_e32 v3, 0xff, v78
	v_mov_b32_e32 v4, v79
	v_lshlrev_b64 v[3:4], 4, v[3:4]
	v_add_co_u32_e32 v3, vcc, v2, v3
	v_addc_co_u32_e32 v4, vcc, v1, v4, vcc
	v_cmp_eq_u32_e32 vcc, 16, v78
	s_waitcnt lgkmcnt(0)
	global_store_dwordx4 v[3:4], v[7:10], off
	s_and_b64 exec, exec, vcc
	s_cbranch_execz .LBB0_23
; %bb.22:
	ds_read_b128 v[3:6], v0 offset:4096
	v_add_co_u32_e32 v0, vcc, 0x1000, v2
	v_addc_co_u32_e32 v1, vcc, 0, v1, vcc
	s_waitcnt lgkmcnt(0)
	global_store_dwordx4 v[0:1], v[3:6], off offset:256
.LBB0_23:
	s_endpgm
	.section	.rodata,"a",@progbits
	.p2align	6, 0x0
	.amdhsa_kernel fft_rtc_back_len272_factors_16_17_wgs_119_tpt_17_halfLds_dp_op_CI_CI_unitstride_sbrr_R2C_dirReg
		.amdhsa_group_segment_fixed_size 0
		.amdhsa_private_segment_fixed_size 0
		.amdhsa_kernarg_size 104
		.amdhsa_user_sgpr_count 6
		.amdhsa_user_sgpr_private_segment_buffer 1
		.amdhsa_user_sgpr_dispatch_ptr 0
		.amdhsa_user_sgpr_queue_ptr 0
		.amdhsa_user_sgpr_kernarg_segment_ptr 1
		.amdhsa_user_sgpr_dispatch_id 0
		.amdhsa_user_sgpr_flat_scratch_init 0
		.amdhsa_user_sgpr_private_segment_size 0
		.amdhsa_uses_dynamic_stack 0
		.amdhsa_system_sgpr_private_segment_wavefront_offset 0
		.amdhsa_system_sgpr_workgroup_id_x 1
		.amdhsa_system_sgpr_workgroup_id_y 0
		.amdhsa_system_sgpr_workgroup_id_z 0
		.amdhsa_system_sgpr_workgroup_info 0
		.amdhsa_system_vgpr_workitem_id 0
		.amdhsa_next_free_vgpr 231
		.amdhsa_next_free_sgpr 56
		.amdhsa_reserve_vcc 1
		.amdhsa_reserve_flat_scratch 0
		.amdhsa_float_round_mode_32 0
		.amdhsa_float_round_mode_16_64 0
		.amdhsa_float_denorm_mode_32 3
		.amdhsa_float_denorm_mode_16_64 3
		.amdhsa_dx10_clamp 1
		.amdhsa_ieee_mode 1
		.amdhsa_fp16_overflow 0
		.amdhsa_exception_fp_ieee_invalid_op 0
		.amdhsa_exception_fp_denorm_src 0
		.amdhsa_exception_fp_ieee_div_zero 0
		.amdhsa_exception_fp_ieee_overflow 0
		.amdhsa_exception_fp_ieee_underflow 0
		.amdhsa_exception_fp_ieee_inexact 0
		.amdhsa_exception_int_div_zero 0
	.end_amdhsa_kernel
	.text
.Lfunc_end0:
	.size	fft_rtc_back_len272_factors_16_17_wgs_119_tpt_17_halfLds_dp_op_CI_CI_unitstride_sbrr_R2C_dirReg, .Lfunc_end0-fft_rtc_back_len272_factors_16_17_wgs_119_tpt_17_halfLds_dp_op_CI_CI_unitstride_sbrr_R2C_dirReg
                                        ; -- End function
	.section	.AMDGPU.csdata,"",@progbits
; Kernel info:
; codeLenInByte = 12900
; NumSgprs: 60
; NumVgprs: 231
; ScratchSize: 0
; MemoryBound: 0
; FloatMode: 240
; IeeeMode: 1
; LDSByteSize: 0 bytes/workgroup (compile time only)
; SGPRBlocks: 7
; VGPRBlocks: 57
; NumSGPRsForWavesPerEU: 60
; NumVGPRsForWavesPerEU: 231
; Occupancy: 1
; WaveLimiterHint : 1
; COMPUTE_PGM_RSRC2:SCRATCH_EN: 0
; COMPUTE_PGM_RSRC2:USER_SGPR: 6
; COMPUTE_PGM_RSRC2:TRAP_HANDLER: 0
; COMPUTE_PGM_RSRC2:TGID_X_EN: 1
; COMPUTE_PGM_RSRC2:TGID_Y_EN: 0
; COMPUTE_PGM_RSRC2:TGID_Z_EN: 0
; COMPUTE_PGM_RSRC2:TIDIG_COMP_CNT: 0
	.type	__hip_cuid_f050ffa2d387e9e4,@object ; @__hip_cuid_f050ffa2d387e9e4
	.section	.bss,"aw",@nobits
	.globl	__hip_cuid_f050ffa2d387e9e4
__hip_cuid_f050ffa2d387e9e4:
	.byte	0                               ; 0x0
	.size	__hip_cuid_f050ffa2d387e9e4, 1

	.ident	"AMD clang version 19.0.0git (https://github.com/RadeonOpenCompute/llvm-project roc-6.4.0 25133 c7fe45cf4b819c5991fe208aaa96edf142730f1d)"
	.section	".note.GNU-stack","",@progbits
	.addrsig
	.addrsig_sym __hip_cuid_f050ffa2d387e9e4
	.amdgpu_metadata
---
amdhsa.kernels:
  - .args:
      - .actual_access:  read_only
        .address_space:  global
        .offset:         0
        .size:           8
        .value_kind:     global_buffer
      - .offset:         8
        .size:           8
        .value_kind:     by_value
      - .actual_access:  read_only
        .address_space:  global
        .offset:         16
        .size:           8
        .value_kind:     global_buffer
      - .actual_access:  read_only
        .address_space:  global
        .offset:         24
        .size:           8
        .value_kind:     global_buffer
      - .actual_access:  read_only
        .address_space:  global
        .offset:         32
        .size:           8
        .value_kind:     global_buffer
      - .offset:         40
        .size:           8
        .value_kind:     by_value
      - .actual_access:  read_only
        .address_space:  global
        .offset:         48
        .size:           8
        .value_kind:     global_buffer
      - .actual_access:  read_only
        .address_space:  global
        .offset:         56
        .size:           8
        .value_kind:     global_buffer
      - .offset:         64
        .size:           4
        .value_kind:     by_value
      - .actual_access:  read_only
        .address_space:  global
        .offset:         72
        .size:           8
        .value_kind:     global_buffer
      - .actual_access:  read_only
        .address_space:  global
        .offset:         80
        .size:           8
        .value_kind:     global_buffer
      - .actual_access:  read_only
        .address_space:  global
        .offset:         88
        .size:           8
        .value_kind:     global_buffer
      - .actual_access:  write_only
        .address_space:  global
        .offset:         96
        .size:           8
        .value_kind:     global_buffer
    .group_segment_fixed_size: 0
    .kernarg_segment_align: 8
    .kernarg_segment_size: 104
    .language:       OpenCL C
    .language_version:
      - 2
      - 0
    .max_flat_workgroup_size: 119
    .name:           fft_rtc_back_len272_factors_16_17_wgs_119_tpt_17_halfLds_dp_op_CI_CI_unitstride_sbrr_R2C_dirReg
    .private_segment_fixed_size: 0
    .sgpr_count:     60
    .sgpr_spill_count: 0
    .symbol:         fft_rtc_back_len272_factors_16_17_wgs_119_tpt_17_halfLds_dp_op_CI_CI_unitstride_sbrr_R2C_dirReg.kd
    .uniform_work_group_size: 1
    .uses_dynamic_stack: false
    .vgpr_count:     231
    .vgpr_spill_count: 0
    .wavefront_size: 64
amdhsa.target:   amdgcn-amd-amdhsa--gfx906
amdhsa.version:
  - 1
  - 2
...

	.end_amdgpu_metadata
